;; amdgpu-corpus repo=ROCm/hipCUB kind=compiled arch=gfx1030 opt=O3
	.amdgcn_target "amdgcn-amd-amdhsa--gfx1030"
	.amdhsa_code_object_version 6
	.section	.text._Z20warp_exchange_kernelILj128ELj4ELj16ELN6hipcub21WarpExchangeAlgorithmE0E18StripedToBlockedOpiEvPT4_,"axG",@progbits,_Z20warp_exchange_kernelILj128ELj4ELj16ELN6hipcub21WarpExchangeAlgorithmE0E18StripedToBlockedOpiEvPT4_,comdat
	.protected	_Z20warp_exchange_kernelILj128ELj4ELj16ELN6hipcub21WarpExchangeAlgorithmE0E18StripedToBlockedOpiEvPT4_ ; -- Begin function _Z20warp_exchange_kernelILj128ELj4ELj16ELN6hipcub21WarpExchangeAlgorithmE0E18StripedToBlockedOpiEvPT4_
	.globl	_Z20warp_exchange_kernelILj128ELj4ELj16ELN6hipcub21WarpExchangeAlgorithmE0E18StripedToBlockedOpiEvPT4_
	.p2align	8
	.type	_Z20warp_exchange_kernelILj128ELj4ELj16ELN6hipcub21WarpExchangeAlgorithmE0E18StripedToBlockedOpiEvPT4_,@function
_Z20warp_exchange_kernelILj128ELj4ELj16ELN6hipcub21WarpExchangeAlgorithmE0E18StripedToBlockedOpiEvPT4_: ; @_Z20warp_exchange_kernelILj128ELj4ELj16ELN6hipcub21WarpExchangeAlgorithmE0E18StripedToBlockedOpiEvPT4_
; %bb.0:
	v_mbcnt_lo_u32_b32 v1, -1, 0
	v_lshlrev_b32_e32 v2, 4, v0
	s_load_dwordx2 s[0:1], s[4:5], 0x0
	v_mov_b32_e32 v5, 0
	v_mov_b32_e32 v4, 1
	v_and_b32_e32 v1, 15, v1
	v_and_b32_e32 v2, 0x700, v2
	v_lshlrev_b32_e32 v8, 2, v0
	v_mov_b32_e32 v3, 2
	v_mov_b32_e32 v7, 3
	v_lshl_or_b32 v6, v1, 2, v2
	v_lshl_or_b32 v0, v1, 4, v2
	ds_write2_b32 v6, v5, v4 offset1:16
	ds_write2_b32 v6, v3, v7 offset0:32 offset1:48
	; wave barrier
	ds_read_b128 v[0:3], v0
	v_lshl_or_b32 v4, s6, 9, v8
	v_lshlrev_b64 v[4:5], 2, v[4:5]
	s_waitcnt lgkmcnt(0)
	v_add_co_u32 v4, vcc_lo, s0, v4
	v_add_co_ci_u32_e64 v5, null, s1, v5, vcc_lo
	global_store_dwordx4 v[4:5], v[0:3], off
	s_endpgm
	.section	.rodata,"a",@progbits
	.p2align	6, 0x0
	.amdhsa_kernel _Z20warp_exchange_kernelILj128ELj4ELj16ELN6hipcub21WarpExchangeAlgorithmE0E18StripedToBlockedOpiEvPT4_
		.amdhsa_group_segment_fixed_size 2048
		.amdhsa_private_segment_fixed_size 0
		.amdhsa_kernarg_size 8
		.amdhsa_user_sgpr_count 6
		.amdhsa_user_sgpr_private_segment_buffer 1
		.amdhsa_user_sgpr_dispatch_ptr 0
		.amdhsa_user_sgpr_queue_ptr 0
		.amdhsa_user_sgpr_kernarg_segment_ptr 1
		.amdhsa_user_sgpr_dispatch_id 0
		.amdhsa_user_sgpr_flat_scratch_init 0
		.amdhsa_user_sgpr_private_segment_size 0
		.amdhsa_wavefront_size32 1
		.amdhsa_uses_dynamic_stack 0
		.amdhsa_system_sgpr_private_segment_wavefront_offset 0
		.amdhsa_system_sgpr_workgroup_id_x 1
		.amdhsa_system_sgpr_workgroup_id_y 0
		.amdhsa_system_sgpr_workgroup_id_z 0
		.amdhsa_system_sgpr_workgroup_info 0
		.amdhsa_system_vgpr_workitem_id 0
		.amdhsa_next_free_vgpr 9
		.amdhsa_next_free_sgpr 7
		.amdhsa_reserve_vcc 1
		.amdhsa_reserve_flat_scratch 0
		.amdhsa_float_round_mode_32 0
		.amdhsa_float_round_mode_16_64 0
		.amdhsa_float_denorm_mode_32 3
		.amdhsa_float_denorm_mode_16_64 3
		.amdhsa_dx10_clamp 1
		.amdhsa_ieee_mode 1
		.amdhsa_fp16_overflow 0
		.amdhsa_workgroup_processor_mode 1
		.amdhsa_memory_ordered 1
		.amdhsa_forward_progress 1
		.amdhsa_shared_vgpr_count 0
		.amdhsa_exception_fp_ieee_invalid_op 0
		.amdhsa_exception_fp_denorm_src 0
		.amdhsa_exception_fp_ieee_div_zero 0
		.amdhsa_exception_fp_ieee_overflow 0
		.amdhsa_exception_fp_ieee_underflow 0
		.amdhsa_exception_fp_ieee_inexact 0
		.amdhsa_exception_int_div_zero 0
	.end_amdhsa_kernel
	.section	.text._Z20warp_exchange_kernelILj128ELj4ELj16ELN6hipcub21WarpExchangeAlgorithmE0E18StripedToBlockedOpiEvPT4_,"axG",@progbits,_Z20warp_exchange_kernelILj128ELj4ELj16ELN6hipcub21WarpExchangeAlgorithmE0E18StripedToBlockedOpiEvPT4_,comdat
.Lfunc_end0:
	.size	_Z20warp_exchange_kernelILj128ELj4ELj16ELN6hipcub21WarpExchangeAlgorithmE0E18StripedToBlockedOpiEvPT4_, .Lfunc_end0-_Z20warp_exchange_kernelILj128ELj4ELj16ELN6hipcub21WarpExchangeAlgorithmE0E18StripedToBlockedOpiEvPT4_
                                        ; -- End function
	.set _Z20warp_exchange_kernelILj128ELj4ELj16ELN6hipcub21WarpExchangeAlgorithmE0E18StripedToBlockedOpiEvPT4_.num_vgpr, 9
	.set _Z20warp_exchange_kernelILj128ELj4ELj16ELN6hipcub21WarpExchangeAlgorithmE0E18StripedToBlockedOpiEvPT4_.num_agpr, 0
	.set _Z20warp_exchange_kernelILj128ELj4ELj16ELN6hipcub21WarpExchangeAlgorithmE0E18StripedToBlockedOpiEvPT4_.numbered_sgpr, 7
	.set _Z20warp_exchange_kernelILj128ELj4ELj16ELN6hipcub21WarpExchangeAlgorithmE0E18StripedToBlockedOpiEvPT4_.num_named_barrier, 0
	.set _Z20warp_exchange_kernelILj128ELj4ELj16ELN6hipcub21WarpExchangeAlgorithmE0E18StripedToBlockedOpiEvPT4_.private_seg_size, 0
	.set _Z20warp_exchange_kernelILj128ELj4ELj16ELN6hipcub21WarpExchangeAlgorithmE0E18StripedToBlockedOpiEvPT4_.uses_vcc, 1
	.set _Z20warp_exchange_kernelILj128ELj4ELj16ELN6hipcub21WarpExchangeAlgorithmE0E18StripedToBlockedOpiEvPT4_.uses_flat_scratch, 0
	.set _Z20warp_exchange_kernelILj128ELj4ELj16ELN6hipcub21WarpExchangeAlgorithmE0E18StripedToBlockedOpiEvPT4_.has_dyn_sized_stack, 0
	.set _Z20warp_exchange_kernelILj128ELj4ELj16ELN6hipcub21WarpExchangeAlgorithmE0E18StripedToBlockedOpiEvPT4_.has_recursion, 0
	.set _Z20warp_exchange_kernelILj128ELj4ELj16ELN6hipcub21WarpExchangeAlgorithmE0E18StripedToBlockedOpiEvPT4_.has_indirect_call, 0
	.section	.AMDGPU.csdata,"",@progbits
; Kernel info:
; codeLenInByte = 140
; TotalNumSgprs: 9
; NumVgprs: 9
; ScratchSize: 0
; MemoryBound: 0
; FloatMode: 240
; IeeeMode: 1
; LDSByteSize: 2048 bytes/workgroup (compile time only)
; SGPRBlocks: 0
; VGPRBlocks: 1
; NumSGPRsForWavesPerEU: 9
; NumVGPRsForWavesPerEU: 9
; Occupancy: 16
; WaveLimiterHint : 0
; COMPUTE_PGM_RSRC2:SCRATCH_EN: 0
; COMPUTE_PGM_RSRC2:USER_SGPR: 6
; COMPUTE_PGM_RSRC2:TRAP_HANDLER: 0
; COMPUTE_PGM_RSRC2:TGID_X_EN: 1
; COMPUTE_PGM_RSRC2:TGID_Y_EN: 0
; COMPUTE_PGM_RSRC2:TGID_Z_EN: 0
; COMPUTE_PGM_RSRC2:TIDIG_COMP_CNT: 0
	.section	.text._Z20warp_exchange_kernelILj128ELj4ELj16ELN6hipcub21WarpExchangeAlgorithmE0E18BlockedToStripedOpiEvPT4_,"axG",@progbits,_Z20warp_exchange_kernelILj128ELj4ELj16ELN6hipcub21WarpExchangeAlgorithmE0E18BlockedToStripedOpiEvPT4_,comdat
	.protected	_Z20warp_exchange_kernelILj128ELj4ELj16ELN6hipcub21WarpExchangeAlgorithmE0E18BlockedToStripedOpiEvPT4_ ; -- Begin function _Z20warp_exchange_kernelILj128ELj4ELj16ELN6hipcub21WarpExchangeAlgorithmE0E18BlockedToStripedOpiEvPT4_
	.globl	_Z20warp_exchange_kernelILj128ELj4ELj16ELN6hipcub21WarpExchangeAlgorithmE0E18BlockedToStripedOpiEvPT4_
	.p2align	8
	.type	_Z20warp_exchange_kernelILj128ELj4ELj16ELN6hipcub21WarpExchangeAlgorithmE0E18BlockedToStripedOpiEvPT4_,@function
_Z20warp_exchange_kernelILj128ELj4ELj16ELN6hipcub21WarpExchangeAlgorithmE0E18BlockedToStripedOpiEvPT4_: ; @_Z20warp_exchange_kernelILj128ELj4ELj16ELN6hipcub21WarpExchangeAlgorithmE0E18BlockedToStripedOpiEvPT4_
; %bb.0:
	v_mbcnt_lo_u32_b32 v1, -1, 0
	v_lshlrev_b32_e32 v3, 4, v0
	s_load_dwordx2 s[0:1], s[4:5], 0x0
	v_mov_b32_e32 v2, 1
	v_lshlrev_b32_e32 v0, 2, v0
	v_and_b32_e32 v5, 15, v1
	v_mov_b32_e32 v1, 0
	v_lshl_or_b32 v0, s6, 9, v0
	v_lshlrev_b32_e32 v4, 4, v5
	v_and_or_b32 v6, 0x700, v3, v4
	v_mov_b32_e32 v3, 2
	v_mov_b32_e32 v4, 3
	v_mad_i32_i24 v5, v5, -12, v6
	ds_write_b128 v6, v[1:4]
	; wave barrier
	ds_read2_b32 v[2:3], v5 offset1:16
	ds_read2_b32 v[4:5], v5 offset0:32 offset1:48
	v_lshlrev_b64 v[0:1], 2, v[0:1]
	s_waitcnt lgkmcnt(0)
	v_add_co_u32 v0, vcc_lo, s0, v0
	v_add_co_ci_u32_e64 v1, null, s1, v1, vcc_lo
	global_store_dwordx4 v[0:1], v[2:5], off
	s_endpgm
	.section	.rodata,"a",@progbits
	.p2align	6, 0x0
	.amdhsa_kernel _Z20warp_exchange_kernelILj128ELj4ELj16ELN6hipcub21WarpExchangeAlgorithmE0E18BlockedToStripedOpiEvPT4_
		.amdhsa_group_segment_fixed_size 2048
		.amdhsa_private_segment_fixed_size 0
		.amdhsa_kernarg_size 8
		.amdhsa_user_sgpr_count 6
		.amdhsa_user_sgpr_private_segment_buffer 1
		.amdhsa_user_sgpr_dispatch_ptr 0
		.amdhsa_user_sgpr_queue_ptr 0
		.amdhsa_user_sgpr_kernarg_segment_ptr 1
		.amdhsa_user_sgpr_dispatch_id 0
		.amdhsa_user_sgpr_flat_scratch_init 0
		.amdhsa_user_sgpr_private_segment_size 0
		.amdhsa_wavefront_size32 1
		.amdhsa_uses_dynamic_stack 0
		.amdhsa_system_sgpr_private_segment_wavefront_offset 0
		.amdhsa_system_sgpr_workgroup_id_x 1
		.amdhsa_system_sgpr_workgroup_id_y 0
		.amdhsa_system_sgpr_workgroup_id_z 0
		.amdhsa_system_sgpr_workgroup_info 0
		.amdhsa_system_vgpr_workitem_id 0
		.amdhsa_next_free_vgpr 7
		.amdhsa_next_free_sgpr 7
		.amdhsa_reserve_vcc 1
		.amdhsa_reserve_flat_scratch 0
		.amdhsa_float_round_mode_32 0
		.amdhsa_float_round_mode_16_64 0
		.amdhsa_float_denorm_mode_32 3
		.amdhsa_float_denorm_mode_16_64 3
		.amdhsa_dx10_clamp 1
		.amdhsa_ieee_mode 1
		.amdhsa_fp16_overflow 0
		.amdhsa_workgroup_processor_mode 1
		.amdhsa_memory_ordered 1
		.amdhsa_forward_progress 1
		.amdhsa_shared_vgpr_count 0
		.amdhsa_exception_fp_ieee_invalid_op 0
		.amdhsa_exception_fp_denorm_src 0
		.amdhsa_exception_fp_ieee_div_zero 0
		.amdhsa_exception_fp_ieee_overflow 0
		.amdhsa_exception_fp_ieee_underflow 0
		.amdhsa_exception_fp_ieee_inexact 0
		.amdhsa_exception_int_div_zero 0
	.end_amdhsa_kernel
	.section	.text._Z20warp_exchange_kernelILj128ELj4ELj16ELN6hipcub21WarpExchangeAlgorithmE0E18BlockedToStripedOpiEvPT4_,"axG",@progbits,_Z20warp_exchange_kernelILj128ELj4ELj16ELN6hipcub21WarpExchangeAlgorithmE0E18BlockedToStripedOpiEvPT4_,comdat
.Lfunc_end1:
	.size	_Z20warp_exchange_kernelILj128ELj4ELj16ELN6hipcub21WarpExchangeAlgorithmE0E18BlockedToStripedOpiEvPT4_, .Lfunc_end1-_Z20warp_exchange_kernelILj128ELj4ELj16ELN6hipcub21WarpExchangeAlgorithmE0E18BlockedToStripedOpiEvPT4_
                                        ; -- End function
	.set _Z20warp_exchange_kernelILj128ELj4ELj16ELN6hipcub21WarpExchangeAlgorithmE0E18BlockedToStripedOpiEvPT4_.num_vgpr, 7
	.set _Z20warp_exchange_kernelILj128ELj4ELj16ELN6hipcub21WarpExchangeAlgorithmE0E18BlockedToStripedOpiEvPT4_.num_agpr, 0
	.set _Z20warp_exchange_kernelILj128ELj4ELj16ELN6hipcub21WarpExchangeAlgorithmE0E18BlockedToStripedOpiEvPT4_.numbered_sgpr, 7
	.set _Z20warp_exchange_kernelILj128ELj4ELj16ELN6hipcub21WarpExchangeAlgorithmE0E18BlockedToStripedOpiEvPT4_.num_named_barrier, 0
	.set _Z20warp_exchange_kernelILj128ELj4ELj16ELN6hipcub21WarpExchangeAlgorithmE0E18BlockedToStripedOpiEvPT4_.private_seg_size, 0
	.set _Z20warp_exchange_kernelILj128ELj4ELj16ELN6hipcub21WarpExchangeAlgorithmE0E18BlockedToStripedOpiEvPT4_.uses_vcc, 1
	.set _Z20warp_exchange_kernelILj128ELj4ELj16ELN6hipcub21WarpExchangeAlgorithmE0E18BlockedToStripedOpiEvPT4_.uses_flat_scratch, 0
	.set _Z20warp_exchange_kernelILj128ELj4ELj16ELN6hipcub21WarpExchangeAlgorithmE0E18BlockedToStripedOpiEvPT4_.has_dyn_sized_stack, 0
	.set _Z20warp_exchange_kernelILj128ELj4ELj16ELN6hipcub21WarpExchangeAlgorithmE0E18BlockedToStripedOpiEvPT4_.has_recursion, 0
	.set _Z20warp_exchange_kernelILj128ELj4ELj16ELN6hipcub21WarpExchangeAlgorithmE0E18BlockedToStripedOpiEvPT4_.has_indirect_call, 0
	.section	.AMDGPU.csdata,"",@progbits
; Kernel info:
; codeLenInByte = 140
; TotalNumSgprs: 9
; NumVgprs: 7
; ScratchSize: 0
; MemoryBound: 0
; FloatMode: 240
; IeeeMode: 1
; LDSByteSize: 2048 bytes/workgroup (compile time only)
; SGPRBlocks: 0
; VGPRBlocks: 0
; NumSGPRsForWavesPerEU: 9
; NumVGPRsForWavesPerEU: 7
; Occupancy: 16
; WaveLimiterHint : 0
; COMPUTE_PGM_RSRC2:SCRATCH_EN: 0
; COMPUTE_PGM_RSRC2:USER_SGPR: 6
; COMPUTE_PGM_RSRC2:TRAP_HANDLER: 0
; COMPUTE_PGM_RSRC2:TGID_X_EN: 1
; COMPUTE_PGM_RSRC2:TGID_Y_EN: 0
; COMPUTE_PGM_RSRC2:TGID_Z_EN: 0
; COMPUTE_PGM_RSRC2:TIDIG_COMP_CNT: 0
	.section	.text._Z20warp_exchange_kernelILj128ELj16ELj16ELN6hipcub21WarpExchangeAlgorithmE0E18StripedToBlockedOpiEvPT4_,"axG",@progbits,_Z20warp_exchange_kernelILj128ELj16ELj16ELN6hipcub21WarpExchangeAlgorithmE0E18StripedToBlockedOpiEvPT4_,comdat
	.protected	_Z20warp_exchange_kernelILj128ELj16ELj16ELN6hipcub21WarpExchangeAlgorithmE0E18StripedToBlockedOpiEvPT4_ ; -- Begin function _Z20warp_exchange_kernelILj128ELj16ELj16ELN6hipcub21WarpExchangeAlgorithmE0E18StripedToBlockedOpiEvPT4_
	.globl	_Z20warp_exchange_kernelILj128ELj16ELj16ELN6hipcub21WarpExchangeAlgorithmE0E18StripedToBlockedOpiEvPT4_
	.p2align	8
	.type	_Z20warp_exchange_kernelILj128ELj16ELj16ELN6hipcub21WarpExchangeAlgorithmE0E18StripedToBlockedOpiEvPT4_,@function
_Z20warp_exchange_kernelILj128ELj16ELj16ELN6hipcub21WarpExchangeAlgorithmE0E18StripedToBlockedOpiEvPT4_: ; @_Z20warp_exchange_kernelILj128ELj16ELj16ELN6hipcub21WarpExchangeAlgorithmE0E18StripedToBlockedOpiEvPT4_
; %bb.0:
	v_mbcnt_lo_u32_b32 v1, -1, 0
	v_lshlrev_b32_e32 v2, 6, v0
	v_mov_b32_e32 v3, 6
	v_mov_b32_e32 v17, 0
	;; [unrolled: 1-line block ×3, first 2 shown]
	v_and_b32_e32 v1, 15, v1
	v_and_b32_e32 v2, 0x1c00, v2
	v_mov_b32_e32 v11, 7
	v_mov_b32_e32 v5, 2
	;; [unrolled: 1-line block ×4, first 2 shown]
	v_lshl_or_b32 v8, v1, 2, v2
	v_mov_b32_e32 v10, 5
	v_mov_b32_e32 v4, 15
	;; [unrolled: 1-line block ×3, first 2 shown]
	ds_write2_b32 v8, v17, v6 offset1:16
	ds_write2_b32 v8, v5, v7 offset0:32 offset1:48
	ds_write2_b32 v8, v9, v10 offset0:64 offset1:80
	v_mov_b32_e32 v5, 8
	v_mov_b32_e32 v6, 9
	ds_write2_b32 v8, v3, v11 offset0:96 offset1:112
	v_mov_b32_e32 v3, 14
	v_mov_b32_e32 v7, 10
	;; [unrolled: 1-line block ×4, first 2 shown]
	s_load_dwordx2 s[0:1], s[4:5], 0x0
	ds_write2_b32 v8, v5, v6 offset0:128 offset1:144
	ds_write2_b32 v8, v7, v9 offset0:160 offset1:176
	;; [unrolled: 1-line block ×3, first 2 shown]
	v_lshl_or_b32 v12, v1, 6, v2
	ds_write2_b32 v8, v3, v4 offset0:224 offset1:240
	v_lshlrev_b32_e32 v8, 4, v0
	; wave barrier
	ds_read_b128 v[0:3], v12
	ds_read_b128 v[4:7], v12 offset:16
	v_lshl_or_b32 v16, s6, 11, v8
	ds_read_b128 v[8:11], v12 offset:32
	ds_read_b128 v[12:15], v12 offset:48
	v_lshlrev_b64 v[16:17], 2, v[16:17]
	s_waitcnt lgkmcnt(0)
	v_add_co_u32 v16, vcc_lo, s0, v16
	v_add_co_ci_u32_e64 v17, null, s1, v17, vcc_lo
	global_store_dwordx4 v[16:17], v[0:3], off
	global_store_dwordx4 v[16:17], v[4:7], off offset:16
	global_store_dwordx4 v[16:17], v[8:11], off offset:32
	;; [unrolled: 1-line block ×3, first 2 shown]
	s_endpgm
	.section	.rodata,"a",@progbits
	.p2align	6, 0x0
	.amdhsa_kernel _Z20warp_exchange_kernelILj128ELj16ELj16ELN6hipcub21WarpExchangeAlgorithmE0E18StripedToBlockedOpiEvPT4_
		.amdhsa_group_segment_fixed_size 8192
		.amdhsa_private_segment_fixed_size 0
		.amdhsa_kernarg_size 8
		.amdhsa_user_sgpr_count 6
		.amdhsa_user_sgpr_private_segment_buffer 1
		.amdhsa_user_sgpr_dispatch_ptr 0
		.amdhsa_user_sgpr_queue_ptr 0
		.amdhsa_user_sgpr_kernarg_segment_ptr 1
		.amdhsa_user_sgpr_dispatch_id 0
		.amdhsa_user_sgpr_flat_scratch_init 0
		.amdhsa_user_sgpr_private_segment_size 0
		.amdhsa_wavefront_size32 1
		.amdhsa_uses_dynamic_stack 0
		.amdhsa_system_sgpr_private_segment_wavefront_offset 0
		.amdhsa_system_sgpr_workgroup_id_x 1
		.amdhsa_system_sgpr_workgroup_id_y 0
		.amdhsa_system_sgpr_workgroup_id_z 0
		.amdhsa_system_sgpr_workgroup_info 0
		.amdhsa_system_vgpr_workitem_id 0
		.amdhsa_next_free_vgpr 18
		.amdhsa_next_free_sgpr 7
		.amdhsa_reserve_vcc 1
		.amdhsa_reserve_flat_scratch 0
		.amdhsa_float_round_mode_32 0
		.amdhsa_float_round_mode_16_64 0
		.amdhsa_float_denorm_mode_32 3
		.amdhsa_float_denorm_mode_16_64 3
		.amdhsa_dx10_clamp 1
		.amdhsa_ieee_mode 1
		.amdhsa_fp16_overflow 0
		.amdhsa_workgroup_processor_mode 1
		.amdhsa_memory_ordered 1
		.amdhsa_forward_progress 1
		.amdhsa_shared_vgpr_count 0
		.amdhsa_exception_fp_ieee_invalid_op 0
		.amdhsa_exception_fp_denorm_src 0
		.amdhsa_exception_fp_ieee_div_zero 0
		.amdhsa_exception_fp_ieee_overflow 0
		.amdhsa_exception_fp_ieee_underflow 0
		.amdhsa_exception_fp_ieee_inexact 0
		.amdhsa_exception_int_div_zero 0
	.end_amdhsa_kernel
	.section	.text._Z20warp_exchange_kernelILj128ELj16ELj16ELN6hipcub21WarpExchangeAlgorithmE0E18StripedToBlockedOpiEvPT4_,"axG",@progbits,_Z20warp_exchange_kernelILj128ELj16ELj16ELN6hipcub21WarpExchangeAlgorithmE0E18StripedToBlockedOpiEvPT4_,comdat
.Lfunc_end2:
	.size	_Z20warp_exchange_kernelILj128ELj16ELj16ELN6hipcub21WarpExchangeAlgorithmE0E18StripedToBlockedOpiEvPT4_, .Lfunc_end2-_Z20warp_exchange_kernelILj128ELj16ELj16ELN6hipcub21WarpExchangeAlgorithmE0E18StripedToBlockedOpiEvPT4_
                                        ; -- End function
	.set _Z20warp_exchange_kernelILj128ELj16ELj16ELN6hipcub21WarpExchangeAlgorithmE0E18StripedToBlockedOpiEvPT4_.num_vgpr, 18
	.set _Z20warp_exchange_kernelILj128ELj16ELj16ELN6hipcub21WarpExchangeAlgorithmE0E18StripedToBlockedOpiEvPT4_.num_agpr, 0
	.set _Z20warp_exchange_kernelILj128ELj16ELj16ELN6hipcub21WarpExchangeAlgorithmE0E18StripedToBlockedOpiEvPT4_.numbered_sgpr, 7
	.set _Z20warp_exchange_kernelILj128ELj16ELj16ELN6hipcub21WarpExchangeAlgorithmE0E18StripedToBlockedOpiEvPT4_.num_named_barrier, 0
	.set _Z20warp_exchange_kernelILj128ELj16ELj16ELN6hipcub21WarpExchangeAlgorithmE0E18StripedToBlockedOpiEvPT4_.private_seg_size, 0
	.set _Z20warp_exchange_kernelILj128ELj16ELj16ELN6hipcub21WarpExchangeAlgorithmE0E18StripedToBlockedOpiEvPT4_.uses_vcc, 1
	.set _Z20warp_exchange_kernelILj128ELj16ELj16ELN6hipcub21WarpExchangeAlgorithmE0E18StripedToBlockedOpiEvPT4_.uses_flat_scratch, 0
	.set _Z20warp_exchange_kernelILj128ELj16ELj16ELN6hipcub21WarpExchangeAlgorithmE0E18StripedToBlockedOpiEvPT4_.has_dyn_sized_stack, 0
	.set _Z20warp_exchange_kernelILj128ELj16ELj16ELN6hipcub21WarpExchangeAlgorithmE0E18StripedToBlockedOpiEvPT4_.has_recursion, 0
	.set _Z20warp_exchange_kernelILj128ELj16ELj16ELN6hipcub21WarpExchangeAlgorithmE0E18StripedToBlockedOpiEvPT4_.has_indirect_call, 0
	.section	.AMDGPU.csdata,"",@progbits
; Kernel info:
; codeLenInByte = 284
; TotalNumSgprs: 9
; NumVgprs: 18
; ScratchSize: 0
; MemoryBound: 0
; FloatMode: 240
; IeeeMode: 1
; LDSByteSize: 8192 bytes/workgroup (compile time only)
; SGPRBlocks: 0
; VGPRBlocks: 2
; NumSGPRsForWavesPerEU: 9
; NumVGPRsForWavesPerEU: 18
; Occupancy: 16
; WaveLimiterHint : 0
; COMPUTE_PGM_RSRC2:SCRATCH_EN: 0
; COMPUTE_PGM_RSRC2:USER_SGPR: 6
; COMPUTE_PGM_RSRC2:TRAP_HANDLER: 0
; COMPUTE_PGM_RSRC2:TGID_X_EN: 1
; COMPUTE_PGM_RSRC2:TGID_Y_EN: 0
; COMPUTE_PGM_RSRC2:TGID_Z_EN: 0
; COMPUTE_PGM_RSRC2:TIDIG_COMP_CNT: 0
	.section	.text._Z20warp_exchange_kernelILj128ELj16ELj16ELN6hipcub21WarpExchangeAlgorithmE0E18BlockedToStripedOpiEvPT4_,"axG",@progbits,_Z20warp_exchange_kernelILj128ELj16ELj16ELN6hipcub21WarpExchangeAlgorithmE0E18BlockedToStripedOpiEvPT4_,comdat
	.protected	_Z20warp_exchange_kernelILj128ELj16ELj16ELN6hipcub21WarpExchangeAlgorithmE0E18BlockedToStripedOpiEvPT4_ ; -- Begin function _Z20warp_exchange_kernelILj128ELj16ELj16ELN6hipcub21WarpExchangeAlgorithmE0E18BlockedToStripedOpiEvPT4_
	.globl	_Z20warp_exchange_kernelILj128ELj16ELj16ELN6hipcub21WarpExchangeAlgorithmE0E18BlockedToStripedOpiEvPT4_
	.p2align	8
	.type	_Z20warp_exchange_kernelILj128ELj16ELj16ELN6hipcub21WarpExchangeAlgorithmE0E18BlockedToStripedOpiEvPT4_,@function
_Z20warp_exchange_kernelILj128ELj16ELj16ELN6hipcub21WarpExchangeAlgorithmE0E18BlockedToStripedOpiEvPT4_: ; @_Z20warp_exchange_kernelILj128ELj16ELj16ELN6hipcub21WarpExchangeAlgorithmE0E18BlockedToStripedOpiEvPT4_
; %bb.0:
	v_mbcnt_lo_u32_b32 v2, -1, 0
	v_lshlrev_b32_e32 v8, 6, v0
	s_load_dwordx2 s[0:1], s[4:5], 0x0
	v_mov_b32_e32 v1, 0
	v_mov_b32_e32 v3, 2
	v_and_b32_e32 v17, 15, v2
	v_mov_b32_e32 v2, 1
	v_mov_b32_e32 v4, 3
	;; [unrolled: 1-line block ×4, first 2 shown]
	v_lshlrev_b32_e32 v9, 6, v17
	v_mov_b32_e32 v12, 11
	v_mov_b32_e32 v5, 4
	;; [unrolled: 1-line block ×4, first 2 shown]
	v_and_or_b32 v18, 0x1c00, v8, v9
	v_mov_b32_e32 v9, 8
	v_mov_b32_e32 v8, 7
	;; [unrolled: 1-line block ×4, first 2 shown]
	v_mad_i32_i24 v17, 0xffffffc4, v17, v18
	v_mov_b32_e32 v15, 14
	v_mov_b32_e32 v16, 15
	v_lshlrev_b32_e32 v0, 4, v0
	ds_write_b128 v18, v[1:4]
	ds_write_b128 v18, v[5:8] offset:16
	ds_write_b128 v18, v[9:12] offset:32
	;; [unrolled: 1-line block ×3, first 2 shown]
	; wave barrier
	ds_read2_b32 v[2:3], v17 offset1:16
	ds_read2_b32 v[4:5], v17 offset0:32 offset1:48
	ds_read2_b32 v[6:7], v17 offset0:64 offset1:80
	;; [unrolled: 1-line block ×6, first 2 shown]
	v_lshl_or_b32 v0, s6, 11, v0
	ds_read2_b32 v[16:17], v17 offset0:224 offset1:240
	v_lshlrev_b64 v[0:1], 2, v[0:1]
	s_waitcnt lgkmcnt(0)
	v_add_co_u32 v0, vcc_lo, s0, v0
	v_add_co_ci_u32_e64 v1, null, s1, v1, vcc_lo
	global_store_dwordx4 v[0:1], v[2:5], off
	global_store_dwordx4 v[0:1], v[6:9], off offset:16
	global_store_dwordx4 v[0:1], v[10:13], off offset:32
	global_store_dwordx4 v[0:1], v[14:17], off offset:48
	s_endpgm
	.section	.rodata,"a",@progbits
	.p2align	6, 0x0
	.amdhsa_kernel _Z20warp_exchange_kernelILj128ELj16ELj16ELN6hipcub21WarpExchangeAlgorithmE0E18BlockedToStripedOpiEvPT4_
		.amdhsa_group_segment_fixed_size 8192
		.amdhsa_private_segment_fixed_size 0
		.amdhsa_kernarg_size 8
		.amdhsa_user_sgpr_count 6
		.amdhsa_user_sgpr_private_segment_buffer 1
		.amdhsa_user_sgpr_dispatch_ptr 0
		.amdhsa_user_sgpr_queue_ptr 0
		.amdhsa_user_sgpr_kernarg_segment_ptr 1
		.amdhsa_user_sgpr_dispatch_id 0
		.amdhsa_user_sgpr_flat_scratch_init 0
		.amdhsa_user_sgpr_private_segment_size 0
		.amdhsa_wavefront_size32 1
		.amdhsa_uses_dynamic_stack 0
		.amdhsa_system_sgpr_private_segment_wavefront_offset 0
		.amdhsa_system_sgpr_workgroup_id_x 1
		.amdhsa_system_sgpr_workgroup_id_y 0
		.amdhsa_system_sgpr_workgroup_id_z 0
		.amdhsa_system_sgpr_workgroup_info 0
		.amdhsa_system_vgpr_workitem_id 0
		.amdhsa_next_free_vgpr 19
		.amdhsa_next_free_sgpr 7
		.amdhsa_reserve_vcc 1
		.amdhsa_reserve_flat_scratch 0
		.amdhsa_float_round_mode_32 0
		.amdhsa_float_round_mode_16_64 0
		.amdhsa_float_denorm_mode_32 3
		.amdhsa_float_denorm_mode_16_64 3
		.amdhsa_dx10_clamp 1
		.amdhsa_ieee_mode 1
		.amdhsa_fp16_overflow 0
		.amdhsa_workgroup_processor_mode 1
		.amdhsa_memory_ordered 1
		.amdhsa_forward_progress 1
		.amdhsa_shared_vgpr_count 0
		.amdhsa_exception_fp_ieee_invalid_op 0
		.amdhsa_exception_fp_denorm_src 0
		.amdhsa_exception_fp_ieee_div_zero 0
		.amdhsa_exception_fp_ieee_overflow 0
		.amdhsa_exception_fp_ieee_underflow 0
		.amdhsa_exception_fp_ieee_inexact 0
		.amdhsa_exception_int_div_zero 0
	.end_amdhsa_kernel
	.section	.text._Z20warp_exchange_kernelILj128ELj16ELj16ELN6hipcub21WarpExchangeAlgorithmE0E18BlockedToStripedOpiEvPT4_,"axG",@progbits,_Z20warp_exchange_kernelILj128ELj16ELj16ELN6hipcub21WarpExchangeAlgorithmE0E18BlockedToStripedOpiEvPT4_,comdat
.Lfunc_end3:
	.size	_Z20warp_exchange_kernelILj128ELj16ELj16ELN6hipcub21WarpExchangeAlgorithmE0E18BlockedToStripedOpiEvPT4_, .Lfunc_end3-_Z20warp_exchange_kernelILj128ELj16ELj16ELN6hipcub21WarpExchangeAlgorithmE0E18BlockedToStripedOpiEvPT4_
                                        ; -- End function
	.set _Z20warp_exchange_kernelILj128ELj16ELj16ELN6hipcub21WarpExchangeAlgorithmE0E18BlockedToStripedOpiEvPT4_.num_vgpr, 19
	.set _Z20warp_exchange_kernelILj128ELj16ELj16ELN6hipcub21WarpExchangeAlgorithmE0E18BlockedToStripedOpiEvPT4_.num_agpr, 0
	.set _Z20warp_exchange_kernelILj128ELj16ELj16ELN6hipcub21WarpExchangeAlgorithmE0E18BlockedToStripedOpiEvPT4_.numbered_sgpr, 7
	.set _Z20warp_exchange_kernelILj128ELj16ELj16ELN6hipcub21WarpExchangeAlgorithmE0E18BlockedToStripedOpiEvPT4_.num_named_barrier, 0
	.set _Z20warp_exchange_kernelILj128ELj16ELj16ELN6hipcub21WarpExchangeAlgorithmE0E18BlockedToStripedOpiEvPT4_.private_seg_size, 0
	.set _Z20warp_exchange_kernelILj128ELj16ELj16ELN6hipcub21WarpExchangeAlgorithmE0E18BlockedToStripedOpiEvPT4_.uses_vcc, 1
	.set _Z20warp_exchange_kernelILj128ELj16ELj16ELN6hipcub21WarpExchangeAlgorithmE0E18BlockedToStripedOpiEvPT4_.uses_flat_scratch, 0
	.set _Z20warp_exchange_kernelILj128ELj16ELj16ELN6hipcub21WarpExchangeAlgorithmE0E18BlockedToStripedOpiEvPT4_.has_dyn_sized_stack, 0
	.set _Z20warp_exchange_kernelILj128ELj16ELj16ELN6hipcub21WarpExchangeAlgorithmE0E18BlockedToStripedOpiEvPT4_.has_recursion, 0
	.set _Z20warp_exchange_kernelILj128ELj16ELj16ELN6hipcub21WarpExchangeAlgorithmE0E18BlockedToStripedOpiEvPT4_.has_indirect_call, 0
	.section	.AMDGPU.csdata,"",@progbits
; Kernel info:
; codeLenInByte = 288
; TotalNumSgprs: 9
; NumVgprs: 19
; ScratchSize: 0
; MemoryBound: 1
; FloatMode: 240
; IeeeMode: 1
; LDSByteSize: 8192 bytes/workgroup (compile time only)
; SGPRBlocks: 0
; VGPRBlocks: 2
; NumSGPRsForWavesPerEU: 9
; NumVGPRsForWavesPerEU: 19
; Occupancy: 16
; WaveLimiterHint : 1
; COMPUTE_PGM_RSRC2:SCRATCH_EN: 0
; COMPUTE_PGM_RSRC2:USER_SGPR: 6
; COMPUTE_PGM_RSRC2:TRAP_HANDLER: 0
; COMPUTE_PGM_RSRC2:TGID_X_EN: 1
; COMPUTE_PGM_RSRC2:TGID_Y_EN: 0
; COMPUTE_PGM_RSRC2:TGID_Z_EN: 0
; COMPUTE_PGM_RSRC2:TIDIG_COMP_CNT: 0
	.section	.text._Z20warp_exchange_kernelILj128ELj4ELj32ELN6hipcub21WarpExchangeAlgorithmE0E18StripedToBlockedOpiEvPT4_,"axG",@progbits,_Z20warp_exchange_kernelILj128ELj4ELj32ELN6hipcub21WarpExchangeAlgorithmE0E18StripedToBlockedOpiEvPT4_,comdat
	.protected	_Z20warp_exchange_kernelILj128ELj4ELj32ELN6hipcub21WarpExchangeAlgorithmE0E18StripedToBlockedOpiEvPT4_ ; -- Begin function _Z20warp_exchange_kernelILj128ELj4ELj32ELN6hipcub21WarpExchangeAlgorithmE0E18StripedToBlockedOpiEvPT4_
	.globl	_Z20warp_exchange_kernelILj128ELj4ELj32ELN6hipcub21WarpExchangeAlgorithmE0E18StripedToBlockedOpiEvPT4_
	.p2align	8
	.type	_Z20warp_exchange_kernelILj128ELj4ELj32ELN6hipcub21WarpExchangeAlgorithmE0E18StripedToBlockedOpiEvPT4_,@function
_Z20warp_exchange_kernelILj128ELj4ELj32ELN6hipcub21WarpExchangeAlgorithmE0E18StripedToBlockedOpiEvPT4_: ; @_Z20warp_exchange_kernelILj128ELj4ELj32ELN6hipcub21WarpExchangeAlgorithmE0E18StripedToBlockedOpiEvPT4_
; %bb.0:
	v_lshlrev_b32_e32 v1, 4, v0
	v_mbcnt_lo_u32_b32 v2, -1, 0
	s_load_dwordx2 s[0:1], s[4:5], 0x0
	v_mov_b32_e32 v5, 0
	v_mov_b32_e32 v4, 1
	v_and_b32_e32 v1, 0x600, v1
	v_lshlrev_b32_e32 v8, 2, v0
	v_mov_b32_e32 v3, 2
	v_mov_b32_e32 v7, 3
	v_lshl_or_b32 v6, v2, 2, v1
	v_lshl_or_b32 v0, v2, 4, v1
	ds_write2_b32 v6, v5, v4 offset1:32
	ds_write2_b32 v6, v3, v7 offset0:64 offset1:96
	; wave barrier
	ds_read_b128 v[0:3], v0
	v_lshl_or_b32 v4, s6, 9, v8
	v_lshlrev_b64 v[4:5], 2, v[4:5]
	s_waitcnt lgkmcnt(0)
	v_add_co_u32 v4, vcc_lo, s0, v4
	v_add_co_ci_u32_e64 v5, null, s1, v5, vcc_lo
	global_store_dwordx4 v[4:5], v[0:3], off
	s_endpgm
	.section	.rodata,"a",@progbits
	.p2align	6, 0x0
	.amdhsa_kernel _Z20warp_exchange_kernelILj128ELj4ELj32ELN6hipcub21WarpExchangeAlgorithmE0E18StripedToBlockedOpiEvPT4_
		.amdhsa_group_segment_fixed_size 2048
		.amdhsa_private_segment_fixed_size 0
		.amdhsa_kernarg_size 8
		.amdhsa_user_sgpr_count 6
		.amdhsa_user_sgpr_private_segment_buffer 1
		.amdhsa_user_sgpr_dispatch_ptr 0
		.amdhsa_user_sgpr_queue_ptr 0
		.amdhsa_user_sgpr_kernarg_segment_ptr 1
		.amdhsa_user_sgpr_dispatch_id 0
		.amdhsa_user_sgpr_flat_scratch_init 0
		.amdhsa_user_sgpr_private_segment_size 0
		.amdhsa_wavefront_size32 1
		.amdhsa_uses_dynamic_stack 0
		.amdhsa_system_sgpr_private_segment_wavefront_offset 0
		.amdhsa_system_sgpr_workgroup_id_x 1
		.amdhsa_system_sgpr_workgroup_id_y 0
		.amdhsa_system_sgpr_workgroup_id_z 0
		.amdhsa_system_sgpr_workgroup_info 0
		.amdhsa_system_vgpr_workitem_id 0
		.amdhsa_next_free_vgpr 9
		.amdhsa_next_free_sgpr 7
		.amdhsa_reserve_vcc 1
		.amdhsa_reserve_flat_scratch 0
		.amdhsa_float_round_mode_32 0
		.amdhsa_float_round_mode_16_64 0
		.amdhsa_float_denorm_mode_32 3
		.amdhsa_float_denorm_mode_16_64 3
		.amdhsa_dx10_clamp 1
		.amdhsa_ieee_mode 1
		.amdhsa_fp16_overflow 0
		.amdhsa_workgroup_processor_mode 1
		.amdhsa_memory_ordered 1
		.amdhsa_forward_progress 1
		.amdhsa_shared_vgpr_count 0
		.amdhsa_exception_fp_ieee_invalid_op 0
		.amdhsa_exception_fp_denorm_src 0
		.amdhsa_exception_fp_ieee_div_zero 0
		.amdhsa_exception_fp_ieee_overflow 0
		.amdhsa_exception_fp_ieee_underflow 0
		.amdhsa_exception_fp_ieee_inexact 0
		.amdhsa_exception_int_div_zero 0
	.end_amdhsa_kernel
	.section	.text._Z20warp_exchange_kernelILj128ELj4ELj32ELN6hipcub21WarpExchangeAlgorithmE0E18StripedToBlockedOpiEvPT4_,"axG",@progbits,_Z20warp_exchange_kernelILj128ELj4ELj32ELN6hipcub21WarpExchangeAlgorithmE0E18StripedToBlockedOpiEvPT4_,comdat
.Lfunc_end4:
	.size	_Z20warp_exchange_kernelILj128ELj4ELj32ELN6hipcub21WarpExchangeAlgorithmE0E18StripedToBlockedOpiEvPT4_, .Lfunc_end4-_Z20warp_exchange_kernelILj128ELj4ELj32ELN6hipcub21WarpExchangeAlgorithmE0E18StripedToBlockedOpiEvPT4_
                                        ; -- End function
	.set _Z20warp_exchange_kernelILj128ELj4ELj32ELN6hipcub21WarpExchangeAlgorithmE0E18StripedToBlockedOpiEvPT4_.num_vgpr, 9
	.set _Z20warp_exchange_kernelILj128ELj4ELj32ELN6hipcub21WarpExchangeAlgorithmE0E18StripedToBlockedOpiEvPT4_.num_agpr, 0
	.set _Z20warp_exchange_kernelILj128ELj4ELj32ELN6hipcub21WarpExchangeAlgorithmE0E18StripedToBlockedOpiEvPT4_.numbered_sgpr, 7
	.set _Z20warp_exchange_kernelILj128ELj4ELj32ELN6hipcub21WarpExchangeAlgorithmE0E18StripedToBlockedOpiEvPT4_.num_named_barrier, 0
	.set _Z20warp_exchange_kernelILj128ELj4ELj32ELN6hipcub21WarpExchangeAlgorithmE0E18StripedToBlockedOpiEvPT4_.private_seg_size, 0
	.set _Z20warp_exchange_kernelILj128ELj4ELj32ELN6hipcub21WarpExchangeAlgorithmE0E18StripedToBlockedOpiEvPT4_.uses_vcc, 1
	.set _Z20warp_exchange_kernelILj128ELj4ELj32ELN6hipcub21WarpExchangeAlgorithmE0E18StripedToBlockedOpiEvPT4_.uses_flat_scratch, 0
	.set _Z20warp_exchange_kernelILj128ELj4ELj32ELN6hipcub21WarpExchangeAlgorithmE0E18StripedToBlockedOpiEvPT4_.has_dyn_sized_stack, 0
	.set _Z20warp_exchange_kernelILj128ELj4ELj32ELN6hipcub21WarpExchangeAlgorithmE0E18StripedToBlockedOpiEvPT4_.has_recursion, 0
	.set _Z20warp_exchange_kernelILj128ELj4ELj32ELN6hipcub21WarpExchangeAlgorithmE0E18StripedToBlockedOpiEvPT4_.has_indirect_call, 0
	.section	.AMDGPU.csdata,"",@progbits
; Kernel info:
; codeLenInByte = 136
; TotalNumSgprs: 9
; NumVgprs: 9
; ScratchSize: 0
; MemoryBound: 0
; FloatMode: 240
; IeeeMode: 1
; LDSByteSize: 2048 bytes/workgroup (compile time only)
; SGPRBlocks: 0
; VGPRBlocks: 1
; NumSGPRsForWavesPerEU: 9
; NumVGPRsForWavesPerEU: 9
; Occupancy: 16
; WaveLimiterHint : 0
; COMPUTE_PGM_RSRC2:SCRATCH_EN: 0
; COMPUTE_PGM_RSRC2:USER_SGPR: 6
; COMPUTE_PGM_RSRC2:TRAP_HANDLER: 0
; COMPUTE_PGM_RSRC2:TGID_X_EN: 1
; COMPUTE_PGM_RSRC2:TGID_Y_EN: 0
; COMPUTE_PGM_RSRC2:TGID_Z_EN: 0
; COMPUTE_PGM_RSRC2:TIDIG_COMP_CNT: 0
	.section	.text._Z20warp_exchange_kernelILj128ELj4ELj32ELN6hipcub21WarpExchangeAlgorithmE0E18BlockedToStripedOpiEvPT4_,"axG",@progbits,_Z20warp_exchange_kernelILj128ELj4ELj32ELN6hipcub21WarpExchangeAlgorithmE0E18BlockedToStripedOpiEvPT4_,comdat
	.protected	_Z20warp_exchange_kernelILj128ELj4ELj32ELN6hipcub21WarpExchangeAlgorithmE0E18BlockedToStripedOpiEvPT4_ ; -- Begin function _Z20warp_exchange_kernelILj128ELj4ELj32ELN6hipcub21WarpExchangeAlgorithmE0E18BlockedToStripedOpiEvPT4_
	.globl	_Z20warp_exchange_kernelILj128ELj4ELj32ELN6hipcub21WarpExchangeAlgorithmE0E18BlockedToStripedOpiEvPT4_
	.p2align	8
	.type	_Z20warp_exchange_kernelILj128ELj4ELj32ELN6hipcub21WarpExchangeAlgorithmE0E18BlockedToStripedOpiEvPT4_,@function
_Z20warp_exchange_kernelILj128ELj4ELj32ELN6hipcub21WarpExchangeAlgorithmE0E18BlockedToStripedOpiEvPT4_: ; @_Z20warp_exchange_kernelILj128ELj4ELj32ELN6hipcub21WarpExchangeAlgorithmE0E18BlockedToStripedOpiEvPT4_
; %bb.0:
	v_mbcnt_lo_u32_b32 v5, -1, 0
	v_lshlrev_b32_e32 v3, 4, v0
	s_load_dwordx2 s[0:1], s[4:5], 0x0
	v_mov_b32_e32 v1, 0
	v_mov_b32_e32 v2, 1
	v_lshlrev_b32_e32 v4, 4, v5
	v_lshlrev_b32_e32 v0, 2, v0
	v_and_or_b32 v6, 0x600, v3, v4
	v_mov_b32_e32 v3, 2
	v_mov_b32_e32 v4, 3
	v_lshl_or_b32 v0, s6, 9, v0
	v_mad_i32_i24 v5, v5, -12, v6
	ds_write_b128 v6, v[1:4]
	; wave barrier
	ds_read2_b32 v[2:3], v5 offset1:32
	ds_read2_b32 v[4:5], v5 offset0:64 offset1:96
	v_lshlrev_b64 v[0:1], 2, v[0:1]
	s_waitcnt lgkmcnt(0)
	v_add_co_u32 v0, vcc_lo, s0, v0
	v_add_co_ci_u32_e64 v1, null, s1, v1, vcc_lo
	global_store_dwordx4 v[0:1], v[2:5], off
	s_endpgm
	.section	.rodata,"a",@progbits
	.p2align	6, 0x0
	.amdhsa_kernel _Z20warp_exchange_kernelILj128ELj4ELj32ELN6hipcub21WarpExchangeAlgorithmE0E18BlockedToStripedOpiEvPT4_
		.amdhsa_group_segment_fixed_size 2048
		.amdhsa_private_segment_fixed_size 0
		.amdhsa_kernarg_size 8
		.amdhsa_user_sgpr_count 6
		.amdhsa_user_sgpr_private_segment_buffer 1
		.amdhsa_user_sgpr_dispatch_ptr 0
		.amdhsa_user_sgpr_queue_ptr 0
		.amdhsa_user_sgpr_kernarg_segment_ptr 1
		.amdhsa_user_sgpr_dispatch_id 0
		.amdhsa_user_sgpr_flat_scratch_init 0
		.amdhsa_user_sgpr_private_segment_size 0
		.amdhsa_wavefront_size32 1
		.amdhsa_uses_dynamic_stack 0
		.amdhsa_system_sgpr_private_segment_wavefront_offset 0
		.amdhsa_system_sgpr_workgroup_id_x 1
		.amdhsa_system_sgpr_workgroup_id_y 0
		.amdhsa_system_sgpr_workgroup_id_z 0
		.amdhsa_system_sgpr_workgroup_info 0
		.amdhsa_system_vgpr_workitem_id 0
		.amdhsa_next_free_vgpr 7
		.amdhsa_next_free_sgpr 7
		.amdhsa_reserve_vcc 1
		.amdhsa_reserve_flat_scratch 0
		.amdhsa_float_round_mode_32 0
		.amdhsa_float_round_mode_16_64 0
		.amdhsa_float_denorm_mode_32 3
		.amdhsa_float_denorm_mode_16_64 3
		.amdhsa_dx10_clamp 1
		.amdhsa_ieee_mode 1
		.amdhsa_fp16_overflow 0
		.amdhsa_workgroup_processor_mode 1
		.amdhsa_memory_ordered 1
		.amdhsa_forward_progress 1
		.amdhsa_shared_vgpr_count 0
		.amdhsa_exception_fp_ieee_invalid_op 0
		.amdhsa_exception_fp_denorm_src 0
		.amdhsa_exception_fp_ieee_div_zero 0
		.amdhsa_exception_fp_ieee_overflow 0
		.amdhsa_exception_fp_ieee_underflow 0
		.amdhsa_exception_fp_ieee_inexact 0
		.amdhsa_exception_int_div_zero 0
	.end_amdhsa_kernel
	.section	.text._Z20warp_exchange_kernelILj128ELj4ELj32ELN6hipcub21WarpExchangeAlgorithmE0E18BlockedToStripedOpiEvPT4_,"axG",@progbits,_Z20warp_exchange_kernelILj128ELj4ELj32ELN6hipcub21WarpExchangeAlgorithmE0E18BlockedToStripedOpiEvPT4_,comdat
.Lfunc_end5:
	.size	_Z20warp_exchange_kernelILj128ELj4ELj32ELN6hipcub21WarpExchangeAlgorithmE0E18BlockedToStripedOpiEvPT4_, .Lfunc_end5-_Z20warp_exchange_kernelILj128ELj4ELj32ELN6hipcub21WarpExchangeAlgorithmE0E18BlockedToStripedOpiEvPT4_
                                        ; -- End function
	.set _Z20warp_exchange_kernelILj128ELj4ELj32ELN6hipcub21WarpExchangeAlgorithmE0E18BlockedToStripedOpiEvPT4_.num_vgpr, 7
	.set _Z20warp_exchange_kernelILj128ELj4ELj32ELN6hipcub21WarpExchangeAlgorithmE0E18BlockedToStripedOpiEvPT4_.num_agpr, 0
	.set _Z20warp_exchange_kernelILj128ELj4ELj32ELN6hipcub21WarpExchangeAlgorithmE0E18BlockedToStripedOpiEvPT4_.numbered_sgpr, 7
	.set _Z20warp_exchange_kernelILj128ELj4ELj32ELN6hipcub21WarpExchangeAlgorithmE0E18BlockedToStripedOpiEvPT4_.num_named_barrier, 0
	.set _Z20warp_exchange_kernelILj128ELj4ELj32ELN6hipcub21WarpExchangeAlgorithmE0E18BlockedToStripedOpiEvPT4_.private_seg_size, 0
	.set _Z20warp_exchange_kernelILj128ELj4ELj32ELN6hipcub21WarpExchangeAlgorithmE0E18BlockedToStripedOpiEvPT4_.uses_vcc, 1
	.set _Z20warp_exchange_kernelILj128ELj4ELj32ELN6hipcub21WarpExchangeAlgorithmE0E18BlockedToStripedOpiEvPT4_.uses_flat_scratch, 0
	.set _Z20warp_exchange_kernelILj128ELj4ELj32ELN6hipcub21WarpExchangeAlgorithmE0E18BlockedToStripedOpiEvPT4_.has_dyn_sized_stack, 0
	.set _Z20warp_exchange_kernelILj128ELj4ELj32ELN6hipcub21WarpExchangeAlgorithmE0E18BlockedToStripedOpiEvPT4_.has_recursion, 0
	.set _Z20warp_exchange_kernelILj128ELj4ELj32ELN6hipcub21WarpExchangeAlgorithmE0E18BlockedToStripedOpiEvPT4_.has_indirect_call, 0
	.section	.AMDGPU.csdata,"",@progbits
; Kernel info:
; codeLenInByte = 136
; TotalNumSgprs: 9
; NumVgprs: 7
; ScratchSize: 0
; MemoryBound: 0
; FloatMode: 240
; IeeeMode: 1
; LDSByteSize: 2048 bytes/workgroup (compile time only)
; SGPRBlocks: 0
; VGPRBlocks: 0
; NumSGPRsForWavesPerEU: 9
; NumVGPRsForWavesPerEU: 7
; Occupancy: 16
; WaveLimiterHint : 0
; COMPUTE_PGM_RSRC2:SCRATCH_EN: 0
; COMPUTE_PGM_RSRC2:USER_SGPR: 6
; COMPUTE_PGM_RSRC2:TRAP_HANDLER: 0
; COMPUTE_PGM_RSRC2:TGID_X_EN: 1
; COMPUTE_PGM_RSRC2:TGID_Y_EN: 0
; COMPUTE_PGM_RSRC2:TGID_Z_EN: 0
; COMPUTE_PGM_RSRC2:TIDIG_COMP_CNT: 0
	.section	.text._Z20warp_exchange_kernelILj256ELj4ELj32ELN6hipcub21WarpExchangeAlgorithmE0E18StripedToBlockedOpiEvPT4_,"axG",@progbits,_Z20warp_exchange_kernelILj256ELj4ELj32ELN6hipcub21WarpExchangeAlgorithmE0E18StripedToBlockedOpiEvPT4_,comdat
	.protected	_Z20warp_exchange_kernelILj256ELj4ELj32ELN6hipcub21WarpExchangeAlgorithmE0E18StripedToBlockedOpiEvPT4_ ; -- Begin function _Z20warp_exchange_kernelILj256ELj4ELj32ELN6hipcub21WarpExchangeAlgorithmE0E18StripedToBlockedOpiEvPT4_
	.globl	_Z20warp_exchange_kernelILj256ELj4ELj32ELN6hipcub21WarpExchangeAlgorithmE0E18StripedToBlockedOpiEvPT4_
	.p2align	8
	.type	_Z20warp_exchange_kernelILj256ELj4ELj32ELN6hipcub21WarpExchangeAlgorithmE0E18StripedToBlockedOpiEvPT4_,@function
_Z20warp_exchange_kernelILj256ELj4ELj32ELN6hipcub21WarpExchangeAlgorithmE0E18StripedToBlockedOpiEvPT4_: ; @_Z20warp_exchange_kernelILj256ELj4ELj32ELN6hipcub21WarpExchangeAlgorithmE0E18StripedToBlockedOpiEvPT4_
; %bb.0:
	v_lshlrev_b32_e32 v1, 4, v0
	v_mbcnt_lo_u32_b32 v2, -1, 0
	s_load_dwordx2 s[0:1], s[4:5], 0x0
	v_mov_b32_e32 v5, 0
	v_mov_b32_e32 v4, 1
	v_and_b32_e32 v1, 0xe00, v1
	v_lshlrev_b32_e32 v8, 2, v0
	v_mov_b32_e32 v3, 2
	v_mov_b32_e32 v7, 3
	v_lshl_or_b32 v6, v2, 2, v1
	v_lshl_or_b32 v0, v2, 4, v1
	ds_write2_b32 v6, v5, v4 offset1:32
	ds_write2_b32 v6, v3, v7 offset0:64 offset1:96
	; wave barrier
	ds_read_b128 v[0:3], v0
	v_lshl_or_b32 v4, s6, 10, v8
	v_lshlrev_b64 v[4:5], 2, v[4:5]
	s_waitcnt lgkmcnt(0)
	v_add_co_u32 v4, vcc_lo, s0, v4
	v_add_co_ci_u32_e64 v5, null, s1, v5, vcc_lo
	global_store_dwordx4 v[4:5], v[0:3], off
	s_endpgm
	.section	.rodata,"a",@progbits
	.p2align	6, 0x0
	.amdhsa_kernel _Z20warp_exchange_kernelILj256ELj4ELj32ELN6hipcub21WarpExchangeAlgorithmE0E18StripedToBlockedOpiEvPT4_
		.amdhsa_group_segment_fixed_size 4096
		.amdhsa_private_segment_fixed_size 0
		.amdhsa_kernarg_size 8
		.amdhsa_user_sgpr_count 6
		.amdhsa_user_sgpr_private_segment_buffer 1
		.amdhsa_user_sgpr_dispatch_ptr 0
		.amdhsa_user_sgpr_queue_ptr 0
		.amdhsa_user_sgpr_kernarg_segment_ptr 1
		.amdhsa_user_sgpr_dispatch_id 0
		.amdhsa_user_sgpr_flat_scratch_init 0
		.amdhsa_user_sgpr_private_segment_size 0
		.amdhsa_wavefront_size32 1
		.amdhsa_uses_dynamic_stack 0
		.amdhsa_system_sgpr_private_segment_wavefront_offset 0
		.amdhsa_system_sgpr_workgroup_id_x 1
		.amdhsa_system_sgpr_workgroup_id_y 0
		.amdhsa_system_sgpr_workgroup_id_z 0
		.amdhsa_system_sgpr_workgroup_info 0
		.amdhsa_system_vgpr_workitem_id 0
		.amdhsa_next_free_vgpr 9
		.amdhsa_next_free_sgpr 7
		.amdhsa_reserve_vcc 1
		.amdhsa_reserve_flat_scratch 0
		.amdhsa_float_round_mode_32 0
		.amdhsa_float_round_mode_16_64 0
		.amdhsa_float_denorm_mode_32 3
		.amdhsa_float_denorm_mode_16_64 3
		.amdhsa_dx10_clamp 1
		.amdhsa_ieee_mode 1
		.amdhsa_fp16_overflow 0
		.amdhsa_workgroup_processor_mode 1
		.amdhsa_memory_ordered 1
		.amdhsa_forward_progress 1
		.amdhsa_shared_vgpr_count 0
		.amdhsa_exception_fp_ieee_invalid_op 0
		.amdhsa_exception_fp_denorm_src 0
		.amdhsa_exception_fp_ieee_div_zero 0
		.amdhsa_exception_fp_ieee_overflow 0
		.amdhsa_exception_fp_ieee_underflow 0
		.amdhsa_exception_fp_ieee_inexact 0
		.amdhsa_exception_int_div_zero 0
	.end_amdhsa_kernel
	.section	.text._Z20warp_exchange_kernelILj256ELj4ELj32ELN6hipcub21WarpExchangeAlgorithmE0E18StripedToBlockedOpiEvPT4_,"axG",@progbits,_Z20warp_exchange_kernelILj256ELj4ELj32ELN6hipcub21WarpExchangeAlgorithmE0E18StripedToBlockedOpiEvPT4_,comdat
.Lfunc_end6:
	.size	_Z20warp_exchange_kernelILj256ELj4ELj32ELN6hipcub21WarpExchangeAlgorithmE0E18StripedToBlockedOpiEvPT4_, .Lfunc_end6-_Z20warp_exchange_kernelILj256ELj4ELj32ELN6hipcub21WarpExchangeAlgorithmE0E18StripedToBlockedOpiEvPT4_
                                        ; -- End function
	.set _Z20warp_exchange_kernelILj256ELj4ELj32ELN6hipcub21WarpExchangeAlgorithmE0E18StripedToBlockedOpiEvPT4_.num_vgpr, 9
	.set _Z20warp_exchange_kernelILj256ELj4ELj32ELN6hipcub21WarpExchangeAlgorithmE0E18StripedToBlockedOpiEvPT4_.num_agpr, 0
	.set _Z20warp_exchange_kernelILj256ELj4ELj32ELN6hipcub21WarpExchangeAlgorithmE0E18StripedToBlockedOpiEvPT4_.numbered_sgpr, 7
	.set _Z20warp_exchange_kernelILj256ELj4ELj32ELN6hipcub21WarpExchangeAlgorithmE0E18StripedToBlockedOpiEvPT4_.num_named_barrier, 0
	.set _Z20warp_exchange_kernelILj256ELj4ELj32ELN6hipcub21WarpExchangeAlgorithmE0E18StripedToBlockedOpiEvPT4_.private_seg_size, 0
	.set _Z20warp_exchange_kernelILj256ELj4ELj32ELN6hipcub21WarpExchangeAlgorithmE0E18StripedToBlockedOpiEvPT4_.uses_vcc, 1
	.set _Z20warp_exchange_kernelILj256ELj4ELj32ELN6hipcub21WarpExchangeAlgorithmE0E18StripedToBlockedOpiEvPT4_.uses_flat_scratch, 0
	.set _Z20warp_exchange_kernelILj256ELj4ELj32ELN6hipcub21WarpExchangeAlgorithmE0E18StripedToBlockedOpiEvPT4_.has_dyn_sized_stack, 0
	.set _Z20warp_exchange_kernelILj256ELj4ELj32ELN6hipcub21WarpExchangeAlgorithmE0E18StripedToBlockedOpiEvPT4_.has_recursion, 0
	.set _Z20warp_exchange_kernelILj256ELj4ELj32ELN6hipcub21WarpExchangeAlgorithmE0E18StripedToBlockedOpiEvPT4_.has_indirect_call, 0
	.section	.AMDGPU.csdata,"",@progbits
; Kernel info:
; codeLenInByte = 136
; TotalNumSgprs: 9
; NumVgprs: 9
; ScratchSize: 0
; MemoryBound: 0
; FloatMode: 240
; IeeeMode: 1
; LDSByteSize: 4096 bytes/workgroup (compile time only)
; SGPRBlocks: 0
; VGPRBlocks: 1
; NumSGPRsForWavesPerEU: 9
; NumVGPRsForWavesPerEU: 9
; Occupancy: 16
; WaveLimiterHint : 0
; COMPUTE_PGM_RSRC2:SCRATCH_EN: 0
; COMPUTE_PGM_RSRC2:USER_SGPR: 6
; COMPUTE_PGM_RSRC2:TRAP_HANDLER: 0
; COMPUTE_PGM_RSRC2:TGID_X_EN: 1
; COMPUTE_PGM_RSRC2:TGID_Y_EN: 0
; COMPUTE_PGM_RSRC2:TGID_Z_EN: 0
; COMPUTE_PGM_RSRC2:TIDIG_COMP_CNT: 0
	.section	.text._Z20warp_exchange_kernelILj256ELj4ELj32ELN6hipcub21WarpExchangeAlgorithmE0E18BlockedToStripedOpiEvPT4_,"axG",@progbits,_Z20warp_exchange_kernelILj256ELj4ELj32ELN6hipcub21WarpExchangeAlgorithmE0E18BlockedToStripedOpiEvPT4_,comdat
	.protected	_Z20warp_exchange_kernelILj256ELj4ELj32ELN6hipcub21WarpExchangeAlgorithmE0E18BlockedToStripedOpiEvPT4_ ; -- Begin function _Z20warp_exchange_kernelILj256ELj4ELj32ELN6hipcub21WarpExchangeAlgorithmE0E18BlockedToStripedOpiEvPT4_
	.globl	_Z20warp_exchange_kernelILj256ELj4ELj32ELN6hipcub21WarpExchangeAlgorithmE0E18BlockedToStripedOpiEvPT4_
	.p2align	8
	.type	_Z20warp_exchange_kernelILj256ELj4ELj32ELN6hipcub21WarpExchangeAlgorithmE0E18BlockedToStripedOpiEvPT4_,@function
_Z20warp_exchange_kernelILj256ELj4ELj32ELN6hipcub21WarpExchangeAlgorithmE0E18BlockedToStripedOpiEvPT4_: ; @_Z20warp_exchange_kernelILj256ELj4ELj32ELN6hipcub21WarpExchangeAlgorithmE0E18BlockedToStripedOpiEvPT4_
; %bb.0:
	v_mbcnt_lo_u32_b32 v5, -1, 0
	v_lshlrev_b32_e32 v3, 4, v0
	s_load_dwordx2 s[0:1], s[4:5], 0x0
	v_mov_b32_e32 v1, 0
	v_mov_b32_e32 v2, 1
	v_lshlrev_b32_e32 v4, 4, v5
	v_lshlrev_b32_e32 v0, 2, v0
	v_and_or_b32 v6, 0xe00, v3, v4
	v_mov_b32_e32 v3, 2
	v_mov_b32_e32 v4, 3
	v_lshl_or_b32 v0, s6, 10, v0
	v_mad_i32_i24 v5, v5, -12, v6
	ds_write_b128 v6, v[1:4]
	; wave barrier
	ds_read2_b32 v[2:3], v5 offset1:32
	ds_read2_b32 v[4:5], v5 offset0:64 offset1:96
	v_lshlrev_b64 v[0:1], 2, v[0:1]
	s_waitcnt lgkmcnt(0)
	v_add_co_u32 v0, vcc_lo, s0, v0
	v_add_co_ci_u32_e64 v1, null, s1, v1, vcc_lo
	global_store_dwordx4 v[0:1], v[2:5], off
	s_endpgm
	.section	.rodata,"a",@progbits
	.p2align	6, 0x0
	.amdhsa_kernel _Z20warp_exchange_kernelILj256ELj4ELj32ELN6hipcub21WarpExchangeAlgorithmE0E18BlockedToStripedOpiEvPT4_
		.amdhsa_group_segment_fixed_size 4096
		.amdhsa_private_segment_fixed_size 0
		.amdhsa_kernarg_size 8
		.amdhsa_user_sgpr_count 6
		.amdhsa_user_sgpr_private_segment_buffer 1
		.amdhsa_user_sgpr_dispatch_ptr 0
		.amdhsa_user_sgpr_queue_ptr 0
		.amdhsa_user_sgpr_kernarg_segment_ptr 1
		.amdhsa_user_sgpr_dispatch_id 0
		.amdhsa_user_sgpr_flat_scratch_init 0
		.amdhsa_user_sgpr_private_segment_size 0
		.amdhsa_wavefront_size32 1
		.amdhsa_uses_dynamic_stack 0
		.amdhsa_system_sgpr_private_segment_wavefront_offset 0
		.amdhsa_system_sgpr_workgroup_id_x 1
		.amdhsa_system_sgpr_workgroup_id_y 0
		.amdhsa_system_sgpr_workgroup_id_z 0
		.amdhsa_system_sgpr_workgroup_info 0
		.amdhsa_system_vgpr_workitem_id 0
		.amdhsa_next_free_vgpr 7
		.amdhsa_next_free_sgpr 7
		.amdhsa_reserve_vcc 1
		.amdhsa_reserve_flat_scratch 0
		.amdhsa_float_round_mode_32 0
		.amdhsa_float_round_mode_16_64 0
		.amdhsa_float_denorm_mode_32 3
		.amdhsa_float_denorm_mode_16_64 3
		.amdhsa_dx10_clamp 1
		.amdhsa_ieee_mode 1
		.amdhsa_fp16_overflow 0
		.amdhsa_workgroup_processor_mode 1
		.amdhsa_memory_ordered 1
		.amdhsa_forward_progress 1
		.amdhsa_shared_vgpr_count 0
		.amdhsa_exception_fp_ieee_invalid_op 0
		.amdhsa_exception_fp_denorm_src 0
		.amdhsa_exception_fp_ieee_div_zero 0
		.amdhsa_exception_fp_ieee_overflow 0
		.amdhsa_exception_fp_ieee_underflow 0
		.amdhsa_exception_fp_ieee_inexact 0
		.amdhsa_exception_int_div_zero 0
	.end_amdhsa_kernel
	.section	.text._Z20warp_exchange_kernelILj256ELj4ELj32ELN6hipcub21WarpExchangeAlgorithmE0E18BlockedToStripedOpiEvPT4_,"axG",@progbits,_Z20warp_exchange_kernelILj256ELj4ELj32ELN6hipcub21WarpExchangeAlgorithmE0E18BlockedToStripedOpiEvPT4_,comdat
.Lfunc_end7:
	.size	_Z20warp_exchange_kernelILj256ELj4ELj32ELN6hipcub21WarpExchangeAlgorithmE0E18BlockedToStripedOpiEvPT4_, .Lfunc_end7-_Z20warp_exchange_kernelILj256ELj4ELj32ELN6hipcub21WarpExchangeAlgorithmE0E18BlockedToStripedOpiEvPT4_
                                        ; -- End function
	.set _Z20warp_exchange_kernelILj256ELj4ELj32ELN6hipcub21WarpExchangeAlgorithmE0E18BlockedToStripedOpiEvPT4_.num_vgpr, 7
	.set _Z20warp_exchange_kernelILj256ELj4ELj32ELN6hipcub21WarpExchangeAlgorithmE0E18BlockedToStripedOpiEvPT4_.num_agpr, 0
	.set _Z20warp_exchange_kernelILj256ELj4ELj32ELN6hipcub21WarpExchangeAlgorithmE0E18BlockedToStripedOpiEvPT4_.numbered_sgpr, 7
	.set _Z20warp_exchange_kernelILj256ELj4ELj32ELN6hipcub21WarpExchangeAlgorithmE0E18BlockedToStripedOpiEvPT4_.num_named_barrier, 0
	.set _Z20warp_exchange_kernelILj256ELj4ELj32ELN6hipcub21WarpExchangeAlgorithmE0E18BlockedToStripedOpiEvPT4_.private_seg_size, 0
	.set _Z20warp_exchange_kernelILj256ELj4ELj32ELN6hipcub21WarpExchangeAlgorithmE0E18BlockedToStripedOpiEvPT4_.uses_vcc, 1
	.set _Z20warp_exchange_kernelILj256ELj4ELj32ELN6hipcub21WarpExchangeAlgorithmE0E18BlockedToStripedOpiEvPT4_.uses_flat_scratch, 0
	.set _Z20warp_exchange_kernelILj256ELj4ELj32ELN6hipcub21WarpExchangeAlgorithmE0E18BlockedToStripedOpiEvPT4_.has_dyn_sized_stack, 0
	.set _Z20warp_exchange_kernelILj256ELj4ELj32ELN6hipcub21WarpExchangeAlgorithmE0E18BlockedToStripedOpiEvPT4_.has_recursion, 0
	.set _Z20warp_exchange_kernelILj256ELj4ELj32ELN6hipcub21WarpExchangeAlgorithmE0E18BlockedToStripedOpiEvPT4_.has_indirect_call, 0
	.section	.AMDGPU.csdata,"",@progbits
; Kernel info:
; codeLenInByte = 136
; TotalNumSgprs: 9
; NumVgprs: 7
; ScratchSize: 0
; MemoryBound: 0
; FloatMode: 240
; IeeeMode: 1
; LDSByteSize: 4096 bytes/workgroup (compile time only)
; SGPRBlocks: 0
; VGPRBlocks: 0
; NumSGPRsForWavesPerEU: 9
; NumVGPRsForWavesPerEU: 7
; Occupancy: 16
; WaveLimiterHint : 0
; COMPUTE_PGM_RSRC2:SCRATCH_EN: 0
; COMPUTE_PGM_RSRC2:USER_SGPR: 6
; COMPUTE_PGM_RSRC2:TRAP_HANDLER: 0
; COMPUTE_PGM_RSRC2:TGID_X_EN: 1
; COMPUTE_PGM_RSRC2:TGID_Y_EN: 0
; COMPUTE_PGM_RSRC2:TGID_Z_EN: 0
; COMPUTE_PGM_RSRC2:TIDIG_COMP_CNT: 0
	.section	.text._Z39warp_exchange_scatter_to_striped_kernelIiLj128ELj4ELj16EiEvPT3_,"axG",@progbits,_Z39warp_exchange_scatter_to_striped_kernelIiLj128ELj4ELj16EiEvPT3_,comdat
	.protected	_Z39warp_exchange_scatter_to_striped_kernelIiLj128ELj4ELj16EiEvPT3_ ; -- Begin function _Z39warp_exchange_scatter_to_striped_kernelIiLj128ELj4ELj16EiEvPT3_
	.globl	_Z39warp_exchange_scatter_to_striped_kernelIiLj128ELj4ELj16EiEvPT3_
	.p2align	8
	.type	_Z39warp_exchange_scatter_to_striped_kernelIiLj128ELj4ELj16EiEvPT3_,@function
_Z39warp_exchange_scatter_to_striped_kernelIiLj128ELj4ELj16EiEvPT3_: ; @_Z39warp_exchange_scatter_to_striped_kernelIiLj128ELj4ELj16EiEvPT3_
; %bb.0:
	v_lshlrev_b32_e32 v3, 4, v0
	v_mbcnt_lo_u32_b32 v5, -1, 0
	v_and_b32_e32 v6, 0x70, v0
	s_load_dwordx2 s[0:1], s[4:5], 0x0
	v_mov_b32_e32 v1, 3
	v_and_b32_e32 v7, 0x700, v3
	v_and_b32_e32 v5, 15, v5
	v_mov_b32_e32 v2, 2
	v_mov_b32_e32 v3, 1
	;; [unrolled: 1-line block ×3, first 2 shown]
	v_sub_nc_u32_e32 v8, v7, v6
	v_lshl_or_b32 v11, v5, 2, v7
	v_mov_b32_e32 v6, v4
	ds_write_b128 v8, v[1:4] offset:48
	v_lshl_or_b32 v3, s6, 9, v0
	; wave barrier
	ds_read2_b32 v[7:8], v11 offset1:16
	ds_read2_b32 v[11:12], v11 offset0:32 offset1:48
	v_or_b32_e32 v5, 0x80, v3
	v_mov_b32_e32 v1, v4
	v_or_b32_e32 v0, 0x100, v3
	v_lshlrev_b64 v[9:10], 2, v[3:4]
	v_or_b32_e32 v3, 0x180, v3
	v_lshlrev_b64 v[5:6], 2, v[5:6]
	v_lshlrev_b64 v[0:1], 2, v[0:1]
	s_waitcnt lgkmcnt(0)
	v_add_co_u32 v9, vcc_lo, s0, v9
	v_lshlrev_b64 v[2:3], 2, v[3:4]
	v_add_co_ci_u32_e64 v10, null, s1, v10, vcc_lo
	v_add_co_u32 v5, vcc_lo, s0, v5
	v_add_co_ci_u32_e64 v6, null, s1, v6, vcc_lo
	v_add_co_u32 v0, vcc_lo, s0, v0
	;; [unrolled: 2-line block ×3, first 2 shown]
	v_add_co_ci_u32_e64 v3, null, s1, v3, vcc_lo
	global_store_dword v[9:10], v7, off
	global_store_dword v[5:6], v8, off
	;; [unrolled: 1-line block ×4, first 2 shown]
	s_endpgm
	.section	.rodata,"a",@progbits
	.p2align	6, 0x0
	.amdhsa_kernel _Z39warp_exchange_scatter_to_striped_kernelIiLj128ELj4ELj16EiEvPT3_
		.amdhsa_group_segment_fixed_size 2048
		.amdhsa_private_segment_fixed_size 0
		.amdhsa_kernarg_size 8
		.amdhsa_user_sgpr_count 6
		.amdhsa_user_sgpr_private_segment_buffer 1
		.amdhsa_user_sgpr_dispatch_ptr 0
		.amdhsa_user_sgpr_queue_ptr 0
		.amdhsa_user_sgpr_kernarg_segment_ptr 1
		.amdhsa_user_sgpr_dispatch_id 0
		.amdhsa_user_sgpr_flat_scratch_init 0
		.amdhsa_user_sgpr_private_segment_size 0
		.amdhsa_wavefront_size32 1
		.amdhsa_uses_dynamic_stack 0
		.amdhsa_system_sgpr_private_segment_wavefront_offset 0
		.amdhsa_system_sgpr_workgroup_id_x 1
		.amdhsa_system_sgpr_workgroup_id_y 0
		.amdhsa_system_sgpr_workgroup_id_z 0
		.amdhsa_system_sgpr_workgroup_info 0
		.amdhsa_system_vgpr_workitem_id 0
		.amdhsa_next_free_vgpr 13
		.amdhsa_next_free_sgpr 7
		.amdhsa_reserve_vcc 1
		.amdhsa_reserve_flat_scratch 0
		.amdhsa_float_round_mode_32 0
		.amdhsa_float_round_mode_16_64 0
		.amdhsa_float_denorm_mode_32 3
		.amdhsa_float_denorm_mode_16_64 3
		.amdhsa_dx10_clamp 1
		.amdhsa_ieee_mode 1
		.amdhsa_fp16_overflow 0
		.amdhsa_workgroup_processor_mode 1
		.amdhsa_memory_ordered 1
		.amdhsa_forward_progress 1
		.amdhsa_shared_vgpr_count 0
		.amdhsa_exception_fp_ieee_invalid_op 0
		.amdhsa_exception_fp_denorm_src 0
		.amdhsa_exception_fp_ieee_div_zero 0
		.amdhsa_exception_fp_ieee_overflow 0
		.amdhsa_exception_fp_ieee_underflow 0
		.amdhsa_exception_fp_ieee_inexact 0
		.amdhsa_exception_int_div_zero 0
	.end_amdhsa_kernel
	.section	.text._Z39warp_exchange_scatter_to_striped_kernelIiLj128ELj4ELj16EiEvPT3_,"axG",@progbits,_Z39warp_exchange_scatter_to_striped_kernelIiLj128ELj4ELj16EiEvPT3_,comdat
.Lfunc_end8:
	.size	_Z39warp_exchange_scatter_to_striped_kernelIiLj128ELj4ELj16EiEvPT3_, .Lfunc_end8-_Z39warp_exchange_scatter_to_striped_kernelIiLj128ELj4ELj16EiEvPT3_
                                        ; -- End function
	.set _Z39warp_exchange_scatter_to_striped_kernelIiLj128ELj4ELj16EiEvPT3_.num_vgpr, 13
	.set _Z39warp_exchange_scatter_to_striped_kernelIiLj128ELj4ELj16EiEvPT3_.num_agpr, 0
	.set _Z39warp_exchange_scatter_to_striped_kernelIiLj128ELj4ELj16EiEvPT3_.numbered_sgpr, 7
	.set _Z39warp_exchange_scatter_to_striped_kernelIiLj128ELj4ELj16EiEvPT3_.num_named_barrier, 0
	.set _Z39warp_exchange_scatter_to_striped_kernelIiLj128ELj4ELj16EiEvPT3_.private_seg_size, 0
	.set _Z39warp_exchange_scatter_to_striped_kernelIiLj128ELj4ELj16EiEvPT3_.uses_vcc, 1
	.set _Z39warp_exchange_scatter_to_striped_kernelIiLj128ELj4ELj16EiEvPT3_.uses_flat_scratch, 0
	.set _Z39warp_exchange_scatter_to_striped_kernelIiLj128ELj4ELj16EiEvPT3_.has_dyn_sized_stack, 0
	.set _Z39warp_exchange_scatter_to_striped_kernelIiLj128ELj4ELj16EiEvPT3_.has_recursion, 0
	.set _Z39warp_exchange_scatter_to_striped_kernelIiLj128ELj4ELj16EiEvPT3_.has_indirect_call, 0
	.section	.AMDGPU.csdata,"",@progbits
; Kernel info:
; codeLenInByte = 268
; TotalNumSgprs: 9
; NumVgprs: 13
; ScratchSize: 0
; MemoryBound: 0
; FloatMode: 240
; IeeeMode: 1
; LDSByteSize: 2048 bytes/workgroup (compile time only)
; SGPRBlocks: 0
; VGPRBlocks: 1
; NumSGPRsForWavesPerEU: 9
; NumVGPRsForWavesPerEU: 13
; Occupancy: 16
; WaveLimiterHint : 0
; COMPUTE_PGM_RSRC2:SCRATCH_EN: 0
; COMPUTE_PGM_RSRC2:USER_SGPR: 6
; COMPUTE_PGM_RSRC2:TRAP_HANDLER: 0
; COMPUTE_PGM_RSRC2:TGID_X_EN: 1
; COMPUTE_PGM_RSRC2:TGID_Y_EN: 0
; COMPUTE_PGM_RSRC2:TGID_Z_EN: 0
; COMPUTE_PGM_RSRC2:TIDIG_COMP_CNT: 0
	.section	.text._Z39warp_exchange_scatter_to_striped_kernelIiLj128ELj4ELj32EiEvPT3_,"axG",@progbits,_Z39warp_exchange_scatter_to_striped_kernelIiLj128ELj4ELj32EiEvPT3_,comdat
	.protected	_Z39warp_exchange_scatter_to_striped_kernelIiLj128ELj4ELj32EiEvPT3_ ; -- Begin function _Z39warp_exchange_scatter_to_striped_kernelIiLj128ELj4ELj32EiEvPT3_
	.globl	_Z39warp_exchange_scatter_to_striped_kernelIiLj128ELj4ELj32EiEvPT3_
	.p2align	8
	.type	_Z39warp_exchange_scatter_to_striped_kernelIiLj128ELj4ELj32EiEvPT3_,@function
_Z39warp_exchange_scatter_to_striped_kernelIiLj128ELj4ELj32EiEvPT3_: ; @_Z39warp_exchange_scatter_to_striped_kernelIiLj128ELj4ELj32EiEvPT3_
; %bb.0:
	v_lshrrev_b32_e32 v1, 5, v0
	v_mov_b32_e32 v2, 2
	v_mov_b32_e32 v3, 1
	;; [unrolled: 1-line block ×3, first 2 shown]
	s_load_dwordx2 s[0:1], s[4:5], 0x0
	v_lshlrev_b32_e32 v5, 9, v1
	v_lshlrev_b32_e32 v6, 4, v1
	v_mov_b32_e32 v1, 3
	v_mbcnt_lo_u32_b32 v8, -1, 0
	v_sub_nc_u32_e32 v7, v5, v6
	v_mov_b32_e32 v6, v4
	ds_write_b128 v7, v[1:4] offset:112
	v_lshl_or_b32 v2, v8, 2, v5
	v_lshl_or_b32 v3, s6, 9, v0
	; wave barrier
	ds_read2_b32 v[9:10], v2 offset1:32
	ds_read2_b32 v[11:12], v2 offset0:64 offset1:96
	v_or_b32_e32 v5, 0x80, v3
	v_mov_b32_e32 v1, v4
	v_or_b32_e32 v0, 0x100, v3
	v_lshlrev_b64 v[7:8], 2, v[3:4]
	v_or_b32_e32 v3, 0x180, v3
	v_lshlrev_b64 v[5:6], 2, v[5:6]
	v_lshlrev_b64 v[0:1], 2, v[0:1]
	;; [unrolled: 1-line block ×3, first 2 shown]
	s_waitcnt lgkmcnt(0)
	v_add_co_u32 v7, vcc_lo, s0, v7
	v_add_co_ci_u32_e64 v8, null, s1, v8, vcc_lo
	v_add_co_u32 v4, vcc_lo, s0, v5
	v_add_co_ci_u32_e64 v5, null, s1, v6, vcc_lo
	;; [unrolled: 2-line block ×4, first 2 shown]
	global_store_dword v[7:8], v9, off
	global_store_dword v[4:5], v10, off
	;; [unrolled: 1-line block ×4, first 2 shown]
	s_endpgm
	.section	.rodata,"a",@progbits
	.p2align	6, 0x0
	.amdhsa_kernel _Z39warp_exchange_scatter_to_striped_kernelIiLj128ELj4ELj32EiEvPT3_
		.amdhsa_group_segment_fixed_size 2048
		.amdhsa_private_segment_fixed_size 0
		.amdhsa_kernarg_size 8
		.amdhsa_user_sgpr_count 6
		.amdhsa_user_sgpr_private_segment_buffer 1
		.amdhsa_user_sgpr_dispatch_ptr 0
		.amdhsa_user_sgpr_queue_ptr 0
		.amdhsa_user_sgpr_kernarg_segment_ptr 1
		.amdhsa_user_sgpr_dispatch_id 0
		.amdhsa_user_sgpr_flat_scratch_init 0
		.amdhsa_user_sgpr_private_segment_size 0
		.amdhsa_wavefront_size32 1
		.amdhsa_uses_dynamic_stack 0
		.amdhsa_system_sgpr_private_segment_wavefront_offset 0
		.amdhsa_system_sgpr_workgroup_id_x 1
		.amdhsa_system_sgpr_workgroup_id_y 0
		.amdhsa_system_sgpr_workgroup_id_z 0
		.amdhsa_system_sgpr_workgroup_info 0
		.amdhsa_system_vgpr_workitem_id 0
		.amdhsa_next_free_vgpr 13
		.amdhsa_next_free_sgpr 7
		.amdhsa_reserve_vcc 1
		.amdhsa_reserve_flat_scratch 0
		.amdhsa_float_round_mode_32 0
		.amdhsa_float_round_mode_16_64 0
		.amdhsa_float_denorm_mode_32 3
		.amdhsa_float_denorm_mode_16_64 3
		.amdhsa_dx10_clamp 1
		.amdhsa_ieee_mode 1
		.amdhsa_fp16_overflow 0
		.amdhsa_workgroup_processor_mode 1
		.amdhsa_memory_ordered 1
		.amdhsa_forward_progress 1
		.amdhsa_shared_vgpr_count 0
		.amdhsa_exception_fp_ieee_invalid_op 0
		.amdhsa_exception_fp_denorm_src 0
		.amdhsa_exception_fp_ieee_div_zero 0
		.amdhsa_exception_fp_ieee_overflow 0
		.amdhsa_exception_fp_ieee_underflow 0
		.amdhsa_exception_fp_ieee_inexact 0
		.amdhsa_exception_int_div_zero 0
	.end_amdhsa_kernel
	.section	.text._Z39warp_exchange_scatter_to_striped_kernelIiLj128ELj4ELj32EiEvPT3_,"axG",@progbits,_Z39warp_exchange_scatter_to_striped_kernelIiLj128ELj4ELj32EiEvPT3_,comdat
.Lfunc_end9:
	.size	_Z39warp_exchange_scatter_to_striped_kernelIiLj128ELj4ELj32EiEvPT3_, .Lfunc_end9-_Z39warp_exchange_scatter_to_striped_kernelIiLj128ELj4ELj32EiEvPT3_
                                        ; -- End function
	.set _Z39warp_exchange_scatter_to_striped_kernelIiLj128ELj4ELj32EiEvPT3_.num_vgpr, 13
	.set _Z39warp_exchange_scatter_to_striped_kernelIiLj128ELj4ELj32EiEvPT3_.num_agpr, 0
	.set _Z39warp_exchange_scatter_to_striped_kernelIiLj128ELj4ELj32EiEvPT3_.numbered_sgpr, 7
	.set _Z39warp_exchange_scatter_to_striped_kernelIiLj128ELj4ELj32EiEvPT3_.num_named_barrier, 0
	.set _Z39warp_exchange_scatter_to_striped_kernelIiLj128ELj4ELj32EiEvPT3_.private_seg_size, 0
	.set _Z39warp_exchange_scatter_to_striped_kernelIiLj128ELj4ELj32EiEvPT3_.uses_vcc, 1
	.set _Z39warp_exchange_scatter_to_striped_kernelIiLj128ELj4ELj32EiEvPT3_.uses_flat_scratch, 0
	.set _Z39warp_exchange_scatter_to_striped_kernelIiLj128ELj4ELj32EiEvPT3_.has_dyn_sized_stack, 0
	.set _Z39warp_exchange_scatter_to_striped_kernelIiLj128ELj4ELj32EiEvPT3_.has_recursion, 0
	.set _Z39warp_exchange_scatter_to_striped_kernelIiLj128ELj4ELj32EiEvPT3_.has_indirect_call, 0
	.section	.AMDGPU.csdata,"",@progbits
; Kernel info:
; codeLenInByte = 256
; TotalNumSgprs: 9
; NumVgprs: 13
; ScratchSize: 0
; MemoryBound: 0
; FloatMode: 240
; IeeeMode: 1
; LDSByteSize: 2048 bytes/workgroup (compile time only)
; SGPRBlocks: 0
; VGPRBlocks: 1
; NumSGPRsForWavesPerEU: 9
; NumVGPRsForWavesPerEU: 13
; Occupancy: 16
; WaveLimiterHint : 0
; COMPUTE_PGM_RSRC2:SCRATCH_EN: 0
; COMPUTE_PGM_RSRC2:USER_SGPR: 6
; COMPUTE_PGM_RSRC2:TRAP_HANDLER: 0
; COMPUTE_PGM_RSRC2:TGID_X_EN: 1
; COMPUTE_PGM_RSRC2:TGID_Y_EN: 0
; COMPUTE_PGM_RSRC2:TGID_Z_EN: 0
; COMPUTE_PGM_RSRC2:TIDIG_COMP_CNT: 0
	.section	.text._Z39warp_exchange_scatter_to_striped_kernelIiLj256ELj4ELj32EiEvPT3_,"axG",@progbits,_Z39warp_exchange_scatter_to_striped_kernelIiLj256ELj4ELj32EiEvPT3_,comdat
	.protected	_Z39warp_exchange_scatter_to_striped_kernelIiLj256ELj4ELj32EiEvPT3_ ; -- Begin function _Z39warp_exchange_scatter_to_striped_kernelIiLj256ELj4ELj32EiEvPT3_
	.globl	_Z39warp_exchange_scatter_to_striped_kernelIiLj256ELj4ELj32EiEvPT3_
	.p2align	8
	.type	_Z39warp_exchange_scatter_to_striped_kernelIiLj256ELj4ELj32EiEvPT3_,@function
_Z39warp_exchange_scatter_to_striped_kernelIiLj256ELj4ELj32EiEvPT3_: ; @_Z39warp_exchange_scatter_to_striped_kernelIiLj256ELj4ELj32EiEvPT3_
; %bb.0:
	v_lshrrev_b32_e32 v1, 5, v0
	v_mov_b32_e32 v2, 2
	v_mov_b32_e32 v3, 1
	;; [unrolled: 1-line block ×3, first 2 shown]
	s_load_dwordx2 s[0:1], s[4:5], 0x0
	v_lshlrev_b32_e32 v5, 9, v1
	v_lshlrev_b32_e32 v6, 4, v1
	v_mov_b32_e32 v1, 3
	v_mbcnt_lo_u32_b32 v8, -1, 0
	v_sub_nc_u32_e32 v7, v5, v6
	v_mov_b32_e32 v6, v4
	ds_write_b128 v7, v[1:4] offset:112
	v_lshl_or_b32 v2, v8, 2, v5
	v_lshl_or_b32 v3, s6, 10, v0
	; wave barrier
	ds_read2_b32 v[9:10], v2 offset1:32
	ds_read2_b32 v[11:12], v2 offset0:64 offset1:96
	v_or_b32_e32 v5, 0x100, v3
	v_mov_b32_e32 v1, v4
	v_or_b32_e32 v0, 0x200, v3
	v_lshlrev_b64 v[7:8], 2, v[3:4]
	v_or_b32_e32 v3, 0x300, v3
	v_lshlrev_b64 v[5:6], 2, v[5:6]
	v_lshlrev_b64 v[0:1], 2, v[0:1]
	;; [unrolled: 1-line block ×3, first 2 shown]
	s_waitcnt lgkmcnt(0)
	v_add_co_u32 v7, vcc_lo, s0, v7
	v_add_co_ci_u32_e64 v8, null, s1, v8, vcc_lo
	v_add_co_u32 v4, vcc_lo, s0, v5
	v_add_co_ci_u32_e64 v5, null, s1, v6, vcc_lo
	;; [unrolled: 2-line block ×4, first 2 shown]
	global_store_dword v[7:8], v9, off
	global_store_dword v[4:5], v10, off
	;; [unrolled: 1-line block ×4, first 2 shown]
	s_endpgm
	.section	.rodata,"a",@progbits
	.p2align	6, 0x0
	.amdhsa_kernel _Z39warp_exchange_scatter_to_striped_kernelIiLj256ELj4ELj32EiEvPT3_
		.amdhsa_group_segment_fixed_size 4096
		.amdhsa_private_segment_fixed_size 0
		.amdhsa_kernarg_size 8
		.amdhsa_user_sgpr_count 6
		.amdhsa_user_sgpr_private_segment_buffer 1
		.amdhsa_user_sgpr_dispatch_ptr 0
		.amdhsa_user_sgpr_queue_ptr 0
		.amdhsa_user_sgpr_kernarg_segment_ptr 1
		.amdhsa_user_sgpr_dispatch_id 0
		.amdhsa_user_sgpr_flat_scratch_init 0
		.amdhsa_user_sgpr_private_segment_size 0
		.amdhsa_wavefront_size32 1
		.amdhsa_uses_dynamic_stack 0
		.amdhsa_system_sgpr_private_segment_wavefront_offset 0
		.amdhsa_system_sgpr_workgroup_id_x 1
		.amdhsa_system_sgpr_workgroup_id_y 0
		.amdhsa_system_sgpr_workgroup_id_z 0
		.amdhsa_system_sgpr_workgroup_info 0
		.amdhsa_system_vgpr_workitem_id 0
		.amdhsa_next_free_vgpr 13
		.amdhsa_next_free_sgpr 7
		.amdhsa_reserve_vcc 1
		.amdhsa_reserve_flat_scratch 0
		.amdhsa_float_round_mode_32 0
		.amdhsa_float_round_mode_16_64 0
		.amdhsa_float_denorm_mode_32 3
		.amdhsa_float_denorm_mode_16_64 3
		.amdhsa_dx10_clamp 1
		.amdhsa_ieee_mode 1
		.amdhsa_fp16_overflow 0
		.amdhsa_workgroup_processor_mode 1
		.amdhsa_memory_ordered 1
		.amdhsa_forward_progress 1
		.amdhsa_shared_vgpr_count 0
		.amdhsa_exception_fp_ieee_invalid_op 0
		.amdhsa_exception_fp_denorm_src 0
		.amdhsa_exception_fp_ieee_div_zero 0
		.amdhsa_exception_fp_ieee_overflow 0
		.amdhsa_exception_fp_ieee_underflow 0
		.amdhsa_exception_fp_ieee_inexact 0
		.amdhsa_exception_int_div_zero 0
	.end_amdhsa_kernel
	.section	.text._Z39warp_exchange_scatter_to_striped_kernelIiLj256ELj4ELj32EiEvPT3_,"axG",@progbits,_Z39warp_exchange_scatter_to_striped_kernelIiLj256ELj4ELj32EiEvPT3_,comdat
.Lfunc_end10:
	.size	_Z39warp_exchange_scatter_to_striped_kernelIiLj256ELj4ELj32EiEvPT3_, .Lfunc_end10-_Z39warp_exchange_scatter_to_striped_kernelIiLj256ELj4ELj32EiEvPT3_
                                        ; -- End function
	.set _Z39warp_exchange_scatter_to_striped_kernelIiLj256ELj4ELj32EiEvPT3_.num_vgpr, 13
	.set _Z39warp_exchange_scatter_to_striped_kernelIiLj256ELj4ELj32EiEvPT3_.num_agpr, 0
	.set _Z39warp_exchange_scatter_to_striped_kernelIiLj256ELj4ELj32EiEvPT3_.numbered_sgpr, 7
	.set _Z39warp_exchange_scatter_to_striped_kernelIiLj256ELj4ELj32EiEvPT3_.num_named_barrier, 0
	.set _Z39warp_exchange_scatter_to_striped_kernelIiLj256ELj4ELj32EiEvPT3_.private_seg_size, 0
	.set _Z39warp_exchange_scatter_to_striped_kernelIiLj256ELj4ELj32EiEvPT3_.uses_vcc, 1
	.set _Z39warp_exchange_scatter_to_striped_kernelIiLj256ELj4ELj32EiEvPT3_.uses_flat_scratch, 0
	.set _Z39warp_exchange_scatter_to_striped_kernelIiLj256ELj4ELj32EiEvPT3_.has_dyn_sized_stack, 0
	.set _Z39warp_exchange_scatter_to_striped_kernelIiLj256ELj4ELj32EiEvPT3_.has_recursion, 0
	.set _Z39warp_exchange_scatter_to_striped_kernelIiLj256ELj4ELj32EiEvPT3_.has_indirect_call, 0
	.section	.AMDGPU.csdata,"",@progbits
; Kernel info:
; codeLenInByte = 256
; TotalNumSgprs: 9
; NumVgprs: 13
; ScratchSize: 0
; MemoryBound: 0
; FloatMode: 240
; IeeeMode: 1
; LDSByteSize: 4096 bytes/workgroup (compile time only)
; SGPRBlocks: 0
; VGPRBlocks: 1
; NumSGPRsForWavesPerEU: 9
; NumVGPRsForWavesPerEU: 13
; Occupancy: 16
; WaveLimiterHint : 0
; COMPUTE_PGM_RSRC2:SCRATCH_EN: 0
; COMPUTE_PGM_RSRC2:USER_SGPR: 6
; COMPUTE_PGM_RSRC2:TRAP_HANDLER: 0
; COMPUTE_PGM_RSRC2:TGID_X_EN: 1
; COMPUTE_PGM_RSRC2:TGID_Y_EN: 0
; COMPUTE_PGM_RSRC2:TGID_Z_EN: 0
; COMPUTE_PGM_RSRC2:TIDIG_COMP_CNT: 0
	.section	.text._Z20warp_exchange_kernelILj128ELj16ELj16ELN6hipcub21WarpExchangeAlgorithmE1E18StripedToBlockedOpiEvPT4_,"axG",@progbits,_Z20warp_exchange_kernelILj128ELj16ELj16ELN6hipcub21WarpExchangeAlgorithmE1E18StripedToBlockedOpiEvPT4_,comdat
	.protected	_Z20warp_exchange_kernelILj128ELj16ELj16ELN6hipcub21WarpExchangeAlgorithmE1E18StripedToBlockedOpiEvPT4_ ; -- Begin function _Z20warp_exchange_kernelILj128ELj16ELj16ELN6hipcub21WarpExchangeAlgorithmE1E18StripedToBlockedOpiEvPT4_
	.globl	_Z20warp_exchange_kernelILj128ELj16ELj16ELN6hipcub21WarpExchangeAlgorithmE1E18StripedToBlockedOpiEvPT4_
	.p2align	8
	.type	_Z20warp_exchange_kernelILj128ELj16ELj16ELN6hipcub21WarpExchangeAlgorithmE1E18StripedToBlockedOpiEvPT4_,@function
_Z20warp_exchange_kernelILj128ELj16ELj16ELN6hipcub21WarpExchangeAlgorithmE1E18StripedToBlockedOpiEvPT4_: ; @_Z20warp_exchange_kernelILj128ELj16ELj16ELN6hipcub21WarpExchangeAlgorithmE1E18StripedToBlockedOpiEvPT4_
; %bb.0:
	v_mbcnt_lo_u32_b32 v1, -1, 0
	s_load_dwordx2 s[2:3], s[4:5], 0x0
	v_lshlrev_b32_e32 v0, 4, v0
	v_and_b32_e32 v2, 8, v1
	v_bfe_i32 v11, v1, 3, 1
	v_and_b32_e32 v26, 2, v1
	v_xor_b32_e32 v3, 8, v2
	v_xor_b32_e32 v4, 9, v2
	;; [unrolled: 1-line block ×8, first 2 shown]
	ds_swizzle_b32 v3, v3 offset:swizzle(SWAP,8)
	ds_swizzle_b32 v4, v4 offset:swizzle(SWAP,8)
	;; [unrolled: 1-line block ×8, first 2 shown]
	v_cmp_eq_u32_e32 vcc_lo, 0, v2
	v_and_b32_e32 v2, 4, v1
	v_and_b32_e32 v1, 1, v1
	v_cmp_eq_u32_e64 s0, 0, v2
	s_waitcnt lgkmcnt(0)
	v_and_b32_e32 v11, v11, v3
	v_cndmask_b32_e64 v12, v4, 1, vcc_lo
	v_cndmask_b32_e64 v13, v5, 2, vcc_lo
	;; [unrolled: 1-line block ×7, first 2 shown]
	v_cndmask_b32_e32 v3, 8, v3, vcc_lo
	v_cndmask_b32_e64 v17, v11, v15, s0
	v_cndmask_b32_e64 v19, v12, v16, s0
	;; [unrolled: 1-line block ×4, first 2 shown]
	v_cndmask_b32_e32 v5, 10, v5, vcc_lo
	v_cndmask_b32_e32 v7, 12, v7, vcc_lo
	;; [unrolled: 1-line block ×3, first 2 shown]
	ds_swizzle_b32 v17, v17 offset:swizzle(SWAP,4)
	ds_swizzle_b32 v19, v19 offset:swizzle(SWAP,4)
	;; [unrolled: 1-line block ×4, first 2 shown]
	v_cndmask_b32_e32 v4, 9, v4, vcc_lo
	v_cndmask_b32_e32 v6, 11, v6, vcc_lo
	;; [unrolled: 1-line block ×4, first 2 shown]
	v_cndmask_b32_e64 v22, v3, v7, s0
	v_cndmask_b32_e64 v24, v5, v9, s0
	v_cmp_eq_u32_e32 vcc_lo, 0, v26
	v_cndmask_b32_e64 v23, v4, v8, s0
	v_cndmask_b32_e64 v25, v6, v10, s0
	ds_swizzle_b32 v22, v22 offset:swizzle(SWAP,4)
	ds_swizzle_b32 v24, v24 offset:swizzle(SWAP,4)
	;; [unrolled: 1-line block ×4, first 2 shown]
	s_waitcnt lgkmcnt(7)
	v_cndmask_b32_e64 v11, v17, v11, s0
	s_waitcnt lgkmcnt(6)
	v_cndmask_b32_e64 v12, v19, v12, s0
	;; [unrolled: 2-line block ×4, first 2 shown]
	v_cndmask_b32_e64 v15, v15, v17, s0
	v_cndmask_b32_e64 v16, v16, v19, s0
	;; [unrolled: 1-line block ×4, first 2 shown]
	v_cndmask_b32_e32 v18, v11, v13, vcc_lo
	v_cndmask_b32_e32 v19, v12, v14, vcc_lo
	;; [unrolled: 1-line block ×4, first 2 shown]
	s_waitcnt lgkmcnt(3)
	v_cndmask_b32_e64 v3, v22, v3, s0
	s_waitcnt lgkmcnt(2)
	v_cndmask_b32_e64 v5, v24, v5, s0
	ds_swizzle_b32 v18, v18 offset:swizzle(SWAP,2)
	ds_swizzle_b32 v19, v19 offset:swizzle(SWAP,2)
	s_waitcnt lgkmcnt(3)
	v_cndmask_b32_e64 v4, v23, v4, s0
	s_waitcnt lgkmcnt(2)
	v_cndmask_b32_e64 v6, v25, v6, s0
	v_cndmask_b32_e64 v7, v7, v22, s0
	ds_swizzle_b32 v20, v20 offset:swizzle(SWAP,2)
	v_cndmask_b32_e32 v22, v3, v5, vcc_lo
	ds_swizzle_b32 v21, v21 offset:swizzle(SWAP,2)
	v_cndmask_b32_e64 v9, v9, v24, s0
	v_cndmask_b32_e32 v24, v4, v6, vcc_lo
	v_cndmask_b32_e64 v8, v8, v23, s0
	v_cndmask_b32_e64 v10, v10, v25, s0
	ds_swizzle_b32 v22, v22 offset:swizzle(SWAP,2)
	v_cndmask_b32_e32 v23, v7, v9, vcc_lo
	ds_swizzle_b32 v24, v24 offset:swizzle(SWAP,2)
	v_cmp_eq_u32_e64 s0, 0, v1
	v_cndmask_b32_e32 v25, v8, v10, vcc_lo
	ds_swizzle_b32 v23, v23 offset:swizzle(SWAP,2)
	s_waitcnt lgkmcnt(6)
	v_cndmask_b32_e32 v11, v18, v11, vcc_lo
	ds_swizzle_b32 v25, v25 offset:swizzle(SWAP,2)
	s_waitcnt lgkmcnt(6)
	v_cndmask_b32_e32 v12, v19, v12, vcc_lo
	v_cndmask_b32_e32 v13, v13, v18, vcc_lo
	;; [unrolled: 1-line block ×3, first 2 shown]
	s_waitcnt lgkmcnt(5)
	v_cndmask_b32_e32 v15, v20, v15, vcc_lo
	v_cndmask_b32_e32 v18, v2, v20, vcc_lo
	s_waitcnt lgkmcnt(4)
	v_cndmask_b32_e32 v16, v21, v16, vcc_lo
	v_cndmask_b32_e64 v1, v11, v12, s0
	v_cndmask_b32_e32 v17, v17, v21, vcc_lo
	v_cndmask_b32_e64 v2, v13, v14, s0
	s_waitcnt lgkmcnt(3)
	v_cndmask_b32_e32 v19, v22, v3, vcc_lo
	ds_swizzle_b32 v3, v1 offset:swizzle(SWAP,1)
	v_cndmask_b32_e64 v1, v15, v16, s0
	s_waitcnt lgkmcnt(3)
	v_cndmask_b32_e32 v21, v24, v4, vcc_lo
	v_cndmask_b32_e32 v20, v5, v22, vcc_lo
	;; [unrolled: 1-line block ×3, first 2 shown]
	ds_swizzle_b32 v4, v2 offset:swizzle(SWAP,1)
	v_cndmask_b32_e64 v2, v18, v17, s0
	ds_swizzle_b32 v6, v1 offset:swizzle(SWAP,1)
	s_waitcnt lgkmcnt(4)
	v_cndmask_b32_e32 v24, v23, v7, vcc_lo
	v_cndmask_b32_e64 v1, v19, v21, s0
	s_waitcnt lgkmcnt(3)
	v_cndmask_b32_e32 v26, v25, v8, vcc_lo
	v_cndmask_b32_e32 v23, v9, v23, vcc_lo
	;; [unrolled: 1-line block ×3, first 2 shown]
	ds_swizzle_b32 v8, v2 offset:swizzle(SWAP,1)
	v_cndmask_b32_e64 v2, v20, v22, s0
	ds_swizzle_b32 v27, v1 offset:swizzle(SWAP,1)
	v_cndmask_b32_e64 v1, v24, v26, s0
	v_cndmask_b32_e64 v5, v23, v25, s0
	v_lshl_or_b32 v10, s6, 11, v0
	ds_swizzle_b32 v28, v2 offset:swizzle(SWAP,1)
	s_waitcnt lgkmcnt(5)
	v_cndmask_b32_e64 v2, v12, v3, s0
	ds_swizzle_b32 v29, v1 offset:swizzle(SWAP,1)
	ds_swizzle_b32 v30, v5 offset:swizzle(SWAP,1)
	v_cndmask_b32_e64 v1, v3, v11, s0
	v_mov_b32_e32 v11, 0
	s_waitcnt lgkmcnt(6)
	v_cndmask_b32_e64 v3, v4, v13, s0
	v_cndmask_b32_e64 v4, v14, v4, s0
	s_waitcnt lgkmcnt(5)
	v_cndmask_b32_e64 v5, v6, v15, s0
	v_cndmask_b32_e64 v6, v16, v6, s0
	v_lshlrev_b64 v[14:15], 2, v[10:11]
	s_waitcnt lgkmcnt(4)
	v_cndmask_b32_e64 v7, v8, v18, s0
	v_cndmask_b32_e64 v8, v17, v8, s0
	v_add_co_u32 v17, vcc_lo, s2, v14
	v_add_co_ci_u32_e64 v18, null, s3, v15, vcc_lo
	s_waitcnt lgkmcnt(3)
	v_cndmask_b32_e64 v9, v27, v19, s0
	v_cndmask_b32_e64 v10, v21, v27, s0
	s_waitcnt lgkmcnt(2)
	v_cndmask_b32_e64 v11, v28, v20, s0
	v_cndmask_b32_e64 v12, v22, v28, s0
	;; [unrolled: 3-line block ×4, first 2 shown]
	global_store_dwordx4 v[17:18], v[1:4], off
	global_store_dwordx4 v[17:18], v[5:8], off offset:16
	global_store_dwordx4 v[17:18], v[9:12], off offset:32
	global_store_dwordx4 v[17:18], v[13:16], off offset:48
	s_endpgm
	.section	.rodata,"a",@progbits
	.p2align	6, 0x0
	.amdhsa_kernel _Z20warp_exchange_kernelILj128ELj16ELj16ELN6hipcub21WarpExchangeAlgorithmE1E18StripedToBlockedOpiEvPT4_
		.amdhsa_group_segment_fixed_size 0
		.amdhsa_private_segment_fixed_size 0
		.amdhsa_kernarg_size 8
		.amdhsa_user_sgpr_count 6
		.amdhsa_user_sgpr_private_segment_buffer 1
		.amdhsa_user_sgpr_dispatch_ptr 0
		.amdhsa_user_sgpr_queue_ptr 0
		.amdhsa_user_sgpr_kernarg_segment_ptr 1
		.amdhsa_user_sgpr_dispatch_id 0
		.amdhsa_user_sgpr_flat_scratch_init 0
		.amdhsa_user_sgpr_private_segment_size 0
		.amdhsa_wavefront_size32 1
		.amdhsa_uses_dynamic_stack 0
		.amdhsa_system_sgpr_private_segment_wavefront_offset 0
		.amdhsa_system_sgpr_workgroup_id_x 1
		.amdhsa_system_sgpr_workgroup_id_y 0
		.amdhsa_system_sgpr_workgroup_id_z 0
		.amdhsa_system_sgpr_workgroup_info 0
		.amdhsa_system_vgpr_workitem_id 0
		.amdhsa_next_free_vgpr 31
		.amdhsa_next_free_sgpr 7
		.amdhsa_reserve_vcc 1
		.amdhsa_reserve_flat_scratch 0
		.amdhsa_float_round_mode_32 0
		.amdhsa_float_round_mode_16_64 0
		.amdhsa_float_denorm_mode_32 3
		.amdhsa_float_denorm_mode_16_64 3
		.amdhsa_dx10_clamp 1
		.amdhsa_ieee_mode 1
		.amdhsa_fp16_overflow 0
		.amdhsa_workgroup_processor_mode 1
		.amdhsa_memory_ordered 1
		.amdhsa_forward_progress 1
		.amdhsa_shared_vgpr_count 0
		.amdhsa_exception_fp_ieee_invalid_op 0
		.amdhsa_exception_fp_denorm_src 0
		.amdhsa_exception_fp_ieee_div_zero 0
		.amdhsa_exception_fp_ieee_overflow 0
		.amdhsa_exception_fp_ieee_underflow 0
		.amdhsa_exception_fp_ieee_inexact 0
		.amdhsa_exception_int_div_zero 0
	.end_amdhsa_kernel
	.section	.text._Z20warp_exchange_kernelILj128ELj16ELj16ELN6hipcub21WarpExchangeAlgorithmE1E18StripedToBlockedOpiEvPT4_,"axG",@progbits,_Z20warp_exchange_kernelILj128ELj16ELj16ELN6hipcub21WarpExchangeAlgorithmE1E18StripedToBlockedOpiEvPT4_,comdat
.Lfunc_end11:
	.size	_Z20warp_exchange_kernelILj128ELj16ELj16ELN6hipcub21WarpExchangeAlgorithmE1E18StripedToBlockedOpiEvPT4_, .Lfunc_end11-_Z20warp_exchange_kernelILj128ELj16ELj16ELN6hipcub21WarpExchangeAlgorithmE1E18StripedToBlockedOpiEvPT4_
                                        ; -- End function
	.set _Z20warp_exchange_kernelILj128ELj16ELj16ELN6hipcub21WarpExchangeAlgorithmE1E18StripedToBlockedOpiEvPT4_.num_vgpr, 31
	.set _Z20warp_exchange_kernelILj128ELj16ELj16ELN6hipcub21WarpExchangeAlgorithmE1E18StripedToBlockedOpiEvPT4_.num_agpr, 0
	.set _Z20warp_exchange_kernelILj128ELj16ELj16ELN6hipcub21WarpExchangeAlgorithmE1E18StripedToBlockedOpiEvPT4_.numbered_sgpr, 7
	.set _Z20warp_exchange_kernelILj128ELj16ELj16ELN6hipcub21WarpExchangeAlgorithmE1E18StripedToBlockedOpiEvPT4_.num_named_barrier, 0
	.set _Z20warp_exchange_kernelILj128ELj16ELj16ELN6hipcub21WarpExchangeAlgorithmE1E18StripedToBlockedOpiEvPT4_.private_seg_size, 0
	.set _Z20warp_exchange_kernelILj128ELj16ELj16ELN6hipcub21WarpExchangeAlgorithmE1E18StripedToBlockedOpiEvPT4_.uses_vcc, 1
	.set _Z20warp_exchange_kernelILj128ELj16ELj16ELN6hipcub21WarpExchangeAlgorithmE1E18StripedToBlockedOpiEvPT4_.uses_flat_scratch, 0
	.set _Z20warp_exchange_kernelILj128ELj16ELj16ELN6hipcub21WarpExchangeAlgorithmE1E18StripedToBlockedOpiEvPT4_.has_dyn_sized_stack, 0
	.set _Z20warp_exchange_kernelILj128ELj16ELj16ELN6hipcub21WarpExchangeAlgorithmE1E18StripedToBlockedOpiEvPT4_.has_recursion, 0
	.set _Z20warp_exchange_kernelILj128ELj16ELj16ELN6hipcub21WarpExchangeAlgorithmE1E18StripedToBlockedOpiEvPT4_.has_indirect_call, 0
	.section	.AMDGPU.csdata,"",@progbits
; Kernel info:
; codeLenInByte = 1100
; TotalNumSgprs: 9
; NumVgprs: 31
; ScratchSize: 0
; MemoryBound: 0
; FloatMode: 240
; IeeeMode: 1
; LDSByteSize: 0 bytes/workgroup (compile time only)
; SGPRBlocks: 0
; VGPRBlocks: 3
; NumSGPRsForWavesPerEU: 9
; NumVGPRsForWavesPerEU: 31
; Occupancy: 16
; WaveLimiterHint : 0
; COMPUTE_PGM_RSRC2:SCRATCH_EN: 0
; COMPUTE_PGM_RSRC2:USER_SGPR: 6
; COMPUTE_PGM_RSRC2:TRAP_HANDLER: 0
; COMPUTE_PGM_RSRC2:TGID_X_EN: 1
; COMPUTE_PGM_RSRC2:TGID_Y_EN: 0
; COMPUTE_PGM_RSRC2:TGID_Z_EN: 0
; COMPUTE_PGM_RSRC2:TIDIG_COMP_CNT: 0
	.section	.text._Z20warp_exchange_kernelILj128ELj16ELj16ELN6hipcub21WarpExchangeAlgorithmE1E18BlockedToStripedOpiEvPT4_,"axG",@progbits,_Z20warp_exchange_kernelILj128ELj16ELj16ELN6hipcub21WarpExchangeAlgorithmE1E18BlockedToStripedOpiEvPT4_,comdat
	.protected	_Z20warp_exchange_kernelILj128ELj16ELj16ELN6hipcub21WarpExchangeAlgorithmE1E18BlockedToStripedOpiEvPT4_ ; -- Begin function _Z20warp_exchange_kernelILj128ELj16ELj16ELN6hipcub21WarpExchangeAlgorithmE1E18BlockedToStripedOpiEvPT4_
	.globl	_Z20warp_exchange_kernelILj128ELj16ELj16ELN6hipcub21WarpExchangeAlgorithmE1E18BlockedToStripedOpiEvPT4_
	.p2align	8
	.type	_Z20warp_exchange_kernelILj128ELj16ELj16ELN6hipcub21WarpExchangeAlgorithmE1E18BlockedToStripedOpiEvPT4_,@function
_Z20warp_exchange_kernelILj128ELj16ELj16ELN6hipcub21WarpExchangeAlgorithmE1E18BlockedToStripedOpiEvPT4_: ; @_Z20warp_exchange_kernelILj128ELj16ELj16ELN6hipcub21WarpExchangeAlgorithmE1E18BlockedToStripedOpiEvPT4_
; %bb.0:
	v_mbcnt_lo_u32_b32 v1, -1, 0
	s_load_dwordx2 s[2:3], s[4:5], 0x0
	v_lshlrev_b32_e32 v0, 4, v0
	v_and_b32_e32 v2, 8, v1
	v_bfe_i32 v11, v1, 3, 1
	v_and_b32_e32 v26, 2, v1
	v_xor_b32_e32 v3, 8, v2
	v_xor_b32_e32 v4, 9, v2
	;; [unrolled: 1-line block ×8, first 2 shown]
	ds_swizzle_b32 v3, v3 offset:swizzle(SWAP,8)
	ds_swizzle_b32 v4, v4 offset:swizzle(SWAP,8)
	;; [unrolled: 1-line block ×8, first 2 shown]
	v_cmp_eq_u32_e32 vcc_lo, 0, v2
	v_and_b32_e32 v2, 4, v1
	v_and_b32_e32 v1, 1, v1
	v_cmp_eq_u32_e64 s0, 0, v2
	s_waitcnt lgkmcnt(0)
	v_and_b32_e32 v11, v11, v3
	v_cndmask_b32_e64 v12, v4, 1, vcc_lo
	v_cndmask_b32_e64 v13, v5, 2, vcc_lo
	;; [unrolled: 1-line block ×7, first 2 shown]
	v_cndmask_b32_e32 v3, 8, v3, vcc_lo
	v_cndmask_b32_e64 v17, v11, v15, s0
	v_cndmask_b32_e64 v19, v12, v16, s0
	;; [unrolled: 1-line block ×4, first 2 shown]
	v_cndmask_b32_e32 v5, 10, v5, vcc_lo
	v_cndmask_b32_e32 v7, 12, v7, vcc_lo
	;; [unrolled: 1-line block ×3, first 2 shown]
	ds_swizzle_b32 v17, v17 offset:swizzle(SWAP,4)
	ds_swizzle_b32 v19, v19 offset:swizzle(SWAP,4)
	;; [unrolled: 1-line block ×4, first 2 shown]
	v_cndmask_b32_e32 v4, 9, v4, vcc_lo
	v_cndmask_b32_e32 v6, 11, v6, vcc_lo
	;; [unrolled: 1-line block ×4, first 2 shown]
	v_cndmask_b32_e64 v22, v3, v7, s0
	v_cndmask_b32_e64 v24, v5, v9, s0
	v_cmp_eq_u32_e32 vcc_lo, 0, v26
	v_cndmask_b32_e64 v23, v4, v8, s0
	v_cndmask_b32_e64 v25, v6, v10, s0
	ds_swizzle_b32 v22, v22 offset:swizzle(SWAP,4)
	ds_swizzle_b32 v24, v24 offset:swizzle(SWAP,4)
	;; [unrolled: 1-line block ×4, first 2 shown]
	s_waitcnt lgkmcnt(7)
	v_cndmask_b32_e64 v11, v17, v11, s0
	s_waitcnt lgkmcnt(6)
	v_cndmask_b32_e64 v12, v19, v12, s0
	;; [unrolled: 2-line block ×4, first 2 shown]
	v_cndmask_b32_e64 v15, v15, v17, s0
	v_cndmask_b32_e64 v16, v16, v19, s0
	v_cndmask_b32_e64 v2, v2, v20, s0
	v_cndmask_b32_e64 v17, v18, v21, s0
	v_cndmask_b32_e32 v18, v11, v13, vcc_lo
	v_cndmask_b32_e32 v19, v12, v14, vcc_lo
	v_cndmask_b32_e32 v20, v15, v2, vcc_lo
	v_cndmask_b32_e32 v21, v16, v17, vcc_lo
	s_waitcnt lgkmcnt(3)
	v_cndmask_b32_e64 v3, v22, v3, s0
	s_waitcnt lgkmcnt(2)
	v_cndmask_b32_e64 v5, v24, v5, s0
	ds_swizzle_b32 v18, v18 offset:swizzle(SWAP,2)
	ds_swizzle_b32 v19, v19 offset:swizzle(SWAP,2)
	s_waitcnt lgkmcnt(3)
	v_cndmask_b32_e64 v4, v23, v4, s0
	s_waitcnt lgkmcnt(2)
	v_cndmask_b32_e64 v6, v25, v6, s0
	v_cndmask_b32_e64 v7, v7, v22, s0
	ds_swizzle_b32 v20, v20 offset:swizzle(SWAP,2)
	v_cndmask_b32_e32 v22, v3, v5, vcc_lo
	ds_swizzle_b32 v21, v21 offset:swizzle(SWAP,2)
	v_cndmask_b32_e64 v9, v9, v24, s0
	v_cndmask_b32_e32 v24, v4, v6, vcc_lo
	v_cndmask_b32_e64 v8, v8, v23, s0
	v_cndmask_b32_e64 v10, v10, v25, s0
	ds_swizzle_b32 v22, v22 offset:swizzle(SWAP,2)
	v_cndmask_b32_e32 v23, v7, v9, vcc_lo
	ds_swizzle_b32 v24, v24 offset:swizzle(SWAP,2)
	v_cmp_eq_u32_e64 s0, 0, v1
	v_cndmask_b32_e32 v25, v8, v10, vcc_lo
	ds_swizzle_b32 v23, v23 offset:swizzle(SWAP,2)
	s_waitcnt lgkmcnt(6)
	v_cndmask_b32_e32 v11, v18, v11, vcc_lo
	ds_swizzle_b32 v25, v25 offset:swizzle(SWAP,2)
	s_waitcnt lgkmcnt(6)
	v_cndmask_b32_e32 v12, v19, v12, vcc_lo
	v_cndmask_b32_e32 v13, v13, v18, vcc_lo
	;; [unrolled: 1-line block ×3, first 2 shown]
	s_waitcnt lgkmcnt(5)
	v_cndmask_b32_e32 v15, v20, v15, vcc_lo
	v_cndmask_b32_e32 v18, v2, v20, vcc_lo
	s_waitcnt lgkmcnt(4)
	v_cndmask_b32_e32 v16, v21, v16, vcc_lo
	v_cndmask_b32_e64 v1, v11, v12, s0
	v_cndmask_b32_e32 v17, v17, v21, vcc_lo
	v_cndmask_b32_e64 v2, v13, v14, s0
	s_waitcnt lgkmcnt(3)
	v_cndmask_b32_e32 v19, v22, v3, vcc_lo
	ds_swizzle_b32 v3, v1 offset:swizzle(SWAP,1)
	v_cndmask_b32_e64 v1, v15, v16, s0
	s_waitcnt lgkmcnt(3)
	v_cndmask_b32_e32 v21, v24, v4, vcc_lo
	v_cndmask_b32_e32 v20, v5, v22, vcc_lo
	;; [unrolled: 1-line block ×3, first 2 shown]
	ds_swizzle_b32 v4, v2 offset:swizzle(SWAP,1)
	v_cndmask_b32_e64 v2, v18, v17, s0
	ds_swizzle_b32 v6, v1 offset:swizzle(SWAP,1)
	s_waitcnt lgkmcnt(4)
	v_cndmask_b32_e32 v24, v23, v7, vcc_lo
	v_cndmask_b32_e64 v1, v19, v21, s0
	s_waitcnt lgkmcnt(3)
	v_cndmask_b32_e32 v26, v25, v8, vcc_lo
	v_cndmask_b32_e32 v23, v9, v23, vcc_lo
	v_cndmask_b32_e32 v25, v10, v25, vcc_lo
	ds_swizzle_b32 v8, v2 offset:swizzle(SWAP,1)
	v_cndmask_b32_e64 v2, v20, v22, s0
	ds_swizzle_b32 v27, v1 offset:swizzle(SWAP,1)
	v_cndmask_b32_e64 v1, v24, v26, s0
	v_cndmask_b32_e64 v5, v23, v25, s0
	v_lshl_or_b32 v10, s6, 11, v0
	ds_swizzle_b32 v28, v2 offset:swizzle(SWAP,1)
	s_waitcnt lgkmcnt(5)
	v_cndmask_b32_e64 v2, v12, v3, s0
	ds_swizzle_b32 v29, v1 offset:swizzle(SWAP,1)
	ds_swizzle_b32 v30, v5 offset:swizzle(SWAP,1)
	v_cndmask_b32_e64 v1, v3, v11, s0
	v_mov_b32_e32 v11, 0
	s_waitcnt lgkmcnt(6)
	v_cndmask_b32_e64 v3, v4, v13, s0
	v_cndmask_b32_e64 v4, v14, v4, s0
	s_waitcnt lgkmcnt(5)
	v_cndmask_b32_e64 v5, v6, v15, s0
	v_cndmask_b32_e64 v6, v16, v6, s0
	v_lshlrev_b64 v[14:15], 2, v[10:11]
	s_waitcnt lgkmcnt(4)
	v_cndmask_b32_e64 v7, v8, v18, s0
	v_cndmask_b32_e64 v8, v17, v8, s0
	v_add_co_u32 v17, vcc_lo, s2, v14
	v_add_co_ci_u32_e64 v18, null, s3, v15, vcc_lo
	s_waitcnt lgkmcnt(3)
	v_cndmask_b32_e64 v9, v27, v19, s0
	v_cndmask_b32_e64 v10, v21, v27, s0
	s_waitcnt lgkmcnt(2)
	v_cndmask_b32_e64 v11, v28, v20, s0
	v_cndmask_b32_e64 v12, v22, v28, s0
	;; [unrolled: 3-line block ×4, first 2 shown]
	global_store_dwordx4 v[17:18], v[1:4], off
	global_store_dwordx4 v[17:18], v[5:8], off offset:16
	global_store_dwordx4 v[17:18], v[9:12], off offset:32
	;; [unrolled: 1-line block ×3, first 2 shown]
	s_endpgm
	.section	.rodata,"a",@progbits
	.p2align	6, 0x0
	.amdhsa_kernel _Z20warp_exchange_kernelILj128ELj16ELj16ELN6hipcub21WarpExchangeAlgorithmE1E18BlockedToStripedOpiEvPT4_
		.amdhsa_group_segment_fixed_size 0
		.amdhsa_private_segment_fixed_size 0
		.amdhsa_kernarg_size 8
		.amdhsa_user_sgpr_count 6
		.amdhsa_user_sgpr_private_segment_buffer 1
		.amdhsa_user_sgpr_dispatch_ptr 0
		.amdhsa_user_sgpr_queue_ptr 0
		.amdhsa_user_sgpr_kernarg_segment_ptr 1
		.amdhsa_user_sgpr_dispatch_id 0
		.amdhsa_user_sgpr_flat_scratch_init 0
		.amdhsa_user_sgpr_private_segment_size 0
		.amdhsa_wavefront_size32 1
		.amdhsa_uses_dynamic_stack 0
		.amdhsa_system_sgpr_private_segment_wavefront_offset 0
		.amdhsa_system_sgpr_workgroup_id_x 1
		.amdhsa_system_sgpr_workgroup_id_y 0
		.amdhsa_system_sgpr_workgroup_id_z 0
		.amdhsa_system_sgpr_workgroup_info 0
		.amdhsa_system_vgpr_workitem_id 0
		.amdhsa_next_free_vgpr 31
		.amdhsa_next_free_sgpr 7
		.amdhsa_reserve_vcc 1
		.amdhsa_reserve_flat_scratch 0
		.amdhsa_float_round_mode_32 0
		.amdhsa_float_round_mode_16_64 0
		.amdhsa_float_denorm_mode_32 3
		.amdhsa_float_denorm_mode_16_64 3
		.amdhsa_dx10_clamp 1
		.amdhsa_ieee_mode 1
		.amdhsa_fp16_overflow 0
		.amdhsa_workgroup_processor_mode 1
		.amdhsa_memory_ordered 1
		.amdhsa_forward_progress 1
		.amdhsa_shared_vgpr_count 0
		.amdhsa_exception_fp_ieee_invalid_op 0
		.amdhsa_exception_fp_denorm_src 0
		.amdhsa_exception_fp_ieee_div_zero 0
		.amdhsa_exception_fp_ieee_overflow 0
		.amdhsa_exception_fp_ieee_underflow 0
		.amdhsa_exception_fp_ieee_inexact 0
		.amdhsa_exception_int_div_zero 0
	.end_amdhsa_kernel
	.section	.text._Z20warp_exchange_kernelILj128ELj16ELj16ELN6hipcub21WarpExchangeAlgorithmE1E18BlockedToStripedOpiEvPT4_,"axG",@progbits,_Z20warp_exchange_kernelILj128ELj16ELj16ELN6hipcub21WarpExchangeAlgorithmE1E18BlockedToStripedOpiEvPT4_,comdat
.Lfunc_end12:
	.size	_Z20warp_exchange_kernelILj128ELj16ELj16ELN6hipcub21WarpExchangeAlgorithmE1E18BlockedToStripedOpiEvPT4_, .Lfunc_end12-_Z20warp_exchange_kernelILj128ELj16ELj16ELN6hipcub21WarpExchangeAlgorithmE1E18BlockedToStripedOpiEvPT4_
                                        ; -- End function
	.set _Z20warp_exchange_kernelILj128ELj16ELj16ELN6hipcub21WarpExchangeAlgorithmE1E18BlockedToStripedOpiEvPT4_.num_vgpr, 31
	.set _Z20warp_exchange_kernelILj128ELj16ELj16ELN6hipcub21WarpExchangeAlgorithmE1E18BlockedToStripedOpiEvPT4_.num_agpr, 0
	.set _Z20warp_exchange_kernelILj128ELj16ELj16ELN6hipcub21WarpExchangeAlgorithmE1E18BlockedToStripedOpiEvPT4_.numbered_sgpr, 7
	.set _Z20warp_exchange_kernelILj128ELj16ELj16ELN6hipcub21WarpExchangeAlgorithmE1E18BlockedToStripedOpiEvPT4_.num_named_barrier, 0
	.set _Z20warp_exchange_kernelILj128ELj16ELj16ELN6hipcub21WarpExchangeAlgorithmE1E18BlockedToStripedOpiEvPT4_.private_seg_size, 0
	.set _Z20warp_exchange_kernelILj128ELj16ELj16ELN6hipcub21WarpExchangeAlgorithmE1E18BlockedToStripedOpiEvPT4_.uses_vcc, 1
	.set _Z20warp_exchange_kernelILj128ELj16ELj16ELN6hipcub21WarpExchangeAlgorithmE1E18BlockedToStripedOpiEvPT4_.uses_flat_scratch, 0
	.set _Z20warp_exchange_kernelILj128ELj16ELj16ELN6hipcub21WarpExchangeAlgorithmE1E18BlockedToStripedOpiEvPT4_.has_dyn_sized_stack, 0
	.set _Z20warp_exchange_kernelILj128ELj16ELj16ELN6hipcub21WarpExchangeAlgorithmE1E18BlockedToStripedOpiEvPT4_.has_recursion, 0
	.set _Z20warp_exchange_kernelILj128ELj16ELj16ELN6hipcub21WarpExchangeAlgorithmE1E18BlockedToStripedOpiEvPT4_.has_indirect_call, 0
	.section	.AMDGPU.csdata,"",@progbits
; Kernel info:
; codeLenInByte = 1100
; TotalNumSgprs: 9
; NumVgprs: 31
; ScratchSize: 0
; MemoryBound: 0
; FloatMode: 240
; IeeeMode: 1
; LDSByteSize: 0 bytes/workgroup (compile time only)
; SGPRBlocks: 0
; VGPRBlocks: 3
; NumSGPRsForWavesPerEU: 9
; NumVGPRsForWavesPerEU: 31
; Occupancy: 16
; WaveLimiterHint : 0
; COMPUTE_PGM_RSRC2:SCRATCH_EN: 0
; COMPUTE_PGM_RSRC2:USER_SGPR: 6
; COMPUTE_PGM_RSRC2:TRAP_HANDLER: 0
; COMPUTE_PGM_RSRC2:TGID_X_EN: 1
; COMPUTE_PGM_RSRC2:TGID_Y_EN: 0
; COMPUTE_PGM_RSRC2:TGID_Z_EN: 0
; COMPUTE_PGM_RSRC2:TIDIG_COMP_CNT: 0
	.section	.text._Z20warp_exchange_kernelILj128ELj4ELj16ELN6hipcub21WarpExchangeAlgorithmE1E18StripedToBlockedOpiEvPT4_,"axG",@progbits,_Z20warp_exchange_kernelILj128ELj4ELj16ELN6hipcub21WarpExchangeAlgorithmE1E18StripedToBlockedOpiEvPT4_,comdat
	.protected	_Z20warp_exchange_kernelILj128ELj4ELj16ELN6hipcub21WarpExchangeAlgorithmE1E18StripedToBlockedOpiEvPT4_ ; -- Begin function _Z20warp_exchange_kernelILj128ELj4ELj16ELN6hipcub21WarpExchangeAlgorithmE1E18StripedToBlockedOpiEvPT4_
	.globl	_Z20warp_exchange_kernelILj128ELj4ELj16ELN6hipcub21WarpExchangeAlgorithmE1E18StripedToBlockedOpiEvPT4_
	.p2align	8
	.type	_Z20warp_exchange_kernelILj128ELj4ELj16ELN6hipcub21WarpExchangeAlgorithmE1E18StripedToBlockedOpiEvPT4_,@function
_Z20warp_exchange_kernelILj128ELj4ELj16ELN6hipcub21WarpExchangeAlgorithmE1E18StripedToBlockedOpiEvPT4_: ; @_Z20warp_exchange_kernelILj128ELj4ELj16ELN6hipcub21WarpExchangeAlgorithmE1E18StripedToBlockedOpiEvPT4_
; %bb.0:
	v_mbcnt_lo_u32_b32 v1, -1, 0
	s_load_dwordx2 s[0:1], s[4:5], 0x0
	v_lshlrev_b32_e32 v0, 2, v0
	v_mov_b32_e32 v2, 0
	v_bfe_u32 v3, v1, 2, 2
	v_cmp_eq_u32_e32 vcc_lo, 1, v3
	v_cndmask_b32_e64 v1, 0, 1, vcc_lo
	v_cmp_ne_u32_e32 vcc_lo, 2, v3
	v_cndmask_b32_e32 v4, 2, v1, vcc_lo
	v_lshl_or_b32 v1, s6, 9, v0
	v_cmp_ne_u32_e32 vcc_lo, 3, v3
	v_cndmask_b32_e32 v0, 3, v4, vcc_lo
	v_lshlrev_b64 v[4:5], 2, v[1:2]
	v_mov_b32_e32 v1, v0
	v_mov_b32_e32 v2, v0
	s_waitcnt lgkmcnt(0)
	v_add_co_u32 v4, vcc_lo, s0, v4
	v_mov_b32_e32 v3, v0
	v_add_co_ci_u32_e64 v5, null, s1, v5, vcc_lo
	global_store_dwordx4 v[4:5], v[0:3], off
	s_endpgm
	.section	.rodata,"a",@progbits
	.p2align	6, 0x0
	.amdhsa_kernel _Z20warp_exchange_kernelILj128ELj4ELj16ELN6hipcub21WarpExchangeAlgorithmE1E18StripedToBlockedOpiEvPT4_
		.amdhsa_group_segment_fixed_size 0
		.amdhsa_private_segment_fixed_size 0
		.amdhsa_kernarg_size 8
		.amdhsa_user_sgpr_count 6
		.amdhsa_user_sgpr_private_segment_buffer 1
		.amdhsa_user_sgpr_dispatch_ptr 0
		.amdhsa_user_sgpr_queue_ptr 0
		.amdhsa_user_sgpr_kernarg_segment_ptr 1
		.amdhsa_user_sgpr_dispatch_id 0
		.amdhsa_user_sgpr_flat_scratch_init 0
		.amdhsa_user_sgpr_private_segment_size 0
		.amdhsa_wavefront_size32 1
		.amdhsa_uses_dynamic_stack 0
		.amdhsa_system_sgpr_private_segment_wavefront_offset 0
		.amdhsa_system_sgpr_workgroup_id_x 1
		.amdhsa_system_sgpr_workgroup_id_y 0
		.amdhsa_system_sgpr_workgroup_id_z 0
		.amdhsa_system_sgpr_workgroup_info 0
		.amdhsa_system_vgpr_workitem_id 0
		.amdhsa_next_free_vgpr 6
		.amdhsa_next_free_sgpr 7
		.amdhsa_reserve_vcc 1
		.amdhsa_reserve_flat_scratch 0
		.amdhsa_float_round_mode_32 0
		.amdhsa_float_round_mode_16_64 0
		.amdhsa_float_denorm_mode_32 3
		.amdhsa_float_denorm_mode_16_64 3
		.amdhsa_dx10_clamp 1
		.amdhsa_ieee_mode 1
		.amdhsa_fp16_overflow 0
		.amdhsa_workgroup_processor_mode 1
		.amdhsa_memory_ordered 1
		.amdhsa_forward_progress 1
		.amdhsa_shared_vgpr_count 0
		.amdhsa_exception_fp_ieee_invalid_op 0
		.amdhsa_exception_fp_denorm_src 0
		.amdhsa_exception_fp_ieee_div_zero 0
		.amdhsa_exception_fp_ieee_overflow 0
		.amdhsa_exception_fp_ieee_underflow 0
		.amdhsa_exception_fp_ieee_inexact 0
		.amdhsa_exception_int_div_zero 0
	.end_amdhsa_kernel
	.section	.text._Z20warp_exchange_kernelILj128ELj4ELj16ELN6hipcub21WarpExchangeAlgorithmE1E18StripedToBlockedOpiEvPT4_,"axG",@progbits,_Z20warp_exchange_kernelILj128ELj4ELj16ELN6hipcub21WarpExchangeAlgorithmE1E18StripedToBlockedOpiEvPT4_,comdat
.Lfunc_end13:
	.size	_Z20warp_exchange_kernelILj128ELj4ELj16ELN6hipcub21WarpExchangeAlgorithmE1E18StripedToBlockedOpiEvPT4_, .Lfunc_end13-_Z20warp_exchange_kernelILj128ELj4ELj16ELN6hipcub21WarpExchangeAlgorithmE1E18StripedToBlockedOpiEvPT4_
                                        ; -- End function
	.set _Z20warp_exchange_kernelILj128ELj4ELj16ELN6hipcub21WarpExchangeAlgorithmE1E18StripedToBlockedOpiEvPT4_.num_vgpr, 6
	.set _Z20warp_exchange_kernelILj128ELj4ELj16ELN6hipcub21WarpExchangeAlgorithmE1E18StripedToBlockedOpiEvPT4_.num_agpr, 0
	.set _Z20warp_exchange_kernelILj128ELj4ELj16ELN6hipcub21WarpExchangeAlgorithmE1E18StripedToBlockedOpiEvPT4_.numbered_sgpr, 7
	.set _Z20warp_exchange_kernelILj128ELj4ELj16ELN6hipcub21WarpExchangeAlgorithmE1E18StripedToBlockedOpiEvPT4_.num_named_barrier, 0
	.set _Z20warp_exchange_kernelILj128ELj4ELj16ELN6hipcub21WarpExchangeAlgorithmE1E18StripedToBlockedOpiEvPT4_.private_seg_size, 0
	.set _Z20warp_exchange_kernelILj128ELj4ELj16ELN6hipcub21WarpExchangeAlgorithmE1E18StripedToBlockedOpiEvPT4_.uses_vcc, 1
	.set _Z20warp_exchange_kernelILj128ELj4ELj16ELN6hipcub21WarpExchangeAlgorithmE1E18StripedToBlockedOpiEvPT4_.uses_flat_scratch, 0
	.set _Z20warp_exchange_kernelILj128ELj4ELj16ELN6hipcub21WarpExchangeAlgorithmE1E18StripedToBlockedOpiEvPT4_.has_dyn_sized_stack, 0
	.set _Z20warp_exchange_kernelILj128ELj4ELj16ELN6hipcub21WarpExchangeAlgorithmE1E18StripedToBlockedOpiEvPT4_.has_recursion, 0
	.set _Z20warp_exchange_kernelILj128ELj4ELj16ELN6hipcub21WarpExchangeAlgorithmE1E18StripedToBlockedOpiEvPT4_.has_indirect_call, 0
	.section	.AMDGPU.csdata,"",@progbits
; Kernel info:
; codeLenInByte = 120
; TotalNumSgprs: 9
; NumVgprs: 6
; ScratchSize: 0
; MemoryBound: 0
; FloatMode: 240
; IeeeMode: 1
; LDSByteSize: 0 bytes/workgroup (compile time only)
; SGPRBlocks: 0
; VGPRBlocks: 0
; NumSGPRsForWavesPerEU: 9
; NumVGPRsForWavesPerEU: 6
; Occupancy: 16
; WaveLimiterHint : 0
; COMPUTE_PGM_RSRC2:SCRATCH_EN: 0
; COMPUTE_PGM_RSRC2:USER_SGPR: 6
; COMPUTE_PGM_RSRC2:TRAP_HANDLER: 0
; COMPUTE_PGM_RSRC2:TGID_X_EN: 1
; COMPUTE_PGM_RSRC2:TGID_Y_EN: 0
; COMPUTE_PGM_RSRC2:TGID_Z_EN: 0
; COMPUTE_PGM_RSRC2:TIDIG_COMP_CNT: 0
	.section	.text._Z20warp_exchange_kernelILj128ELj4ELj16ELN6hipcub21WarpExchangeAlgorithmE1E18BlockedToStripedOpiEvPT4_,"axG",@progbits,_Z20warp_exchange_kernelILj128ELj4ELj16ELN6hipcub21WarpExchangeAlgorithmE1E18BlockedToStripedOpiEvPT4_,comdat
	.protected	_Z20warp_exchange_kernelILj128ELj4ELj16ELN6hipcub21WarpExchangeAlgorithmE1E18BlockedToStripedOpiEvPT4_ ; -- Begin function _Z20warp_exchange_kernelILj128ELj4ELj16ELN6hipcub21WarpExchangeAlgorithmE1E18BlockedToStripedOpiEvPT4_
	.globl	_Z20warp_exchange_kernelILj128ELj4ELj16ELN6hipcub21WarpExchangeAlgorithmE1E18BlockedToStripedOpiEvPT4_
	.p2align	8
	.type	_Z20warp_exchange_kernelILj128ELj4ELj16ELN6hipcub21WarpExchangeAlgorithmE1E18BlockedToStripedOpiEvPT4_,@function
_Z20warp_exchange_kernelILj128ELj4ELj16ELN6hipcub21WarpExchangeAlgorithmE1E18BlockedToStripedOpiEvPT4_: ; @_Z20warp_exchange_kernelILj128ELj4ELj16ELN6hipcub21WarpExchangeAlgorithmE1E18BlockedToStripedOpiEvPT4_
; %bb.0:
	v_mbcnt_lo_u32_b32 v1, -1, 0
	s_load_dwordx2 s[0:1], s[4:5], 0x0
	v_lshlrev_b32_e32 v0, 2, v0
	v_mov_b32_e32 v2, 0
	v_and_b32_e32 v3, 3, v1
	v_cmp_eq_u32_e32 vcc_lo, 1, v3
	v_cndmask_b32_e64 v1, 0, 1, vcc_lo
	v_cmp_ne_u32_e32 vcc_lo, 2, v3
	v_cndmask_b32_e32 v4, 2, v1, vcc_lo
	v_lshl_or_b32 v1, s6, 9, v0
	v_cmp_ne_u32_e32 vcc_lo, 3, v3
	v_cndmask_b32_e32 v0, 3, v4, vcc_lo
	v_lshlrev_b64 v[4:5], 2, v[1:2]
	v_mov_b32_e32 v1, v0
	v_mov_b32_e32 v2, v0
	s_waitcnt lgkmcnt(0)
	v_add_co_u32 v4, vcc_lo, s0, v4
	v_mov_b32_e32 v3, v0
	v_add_co_ci_u32_e64 v5, null, s1, v5, vcc_lo
	global_store_dwordx4 v[4:5], v[0:3], off
	s_endpgm
	.section	.rodata,"a",@progbits
	.p2align	6, 0x0
	.amdhsa_kernel _Z20warp_exchange_kernelILj128ELj4ELj16ELN6hipcub21WarpExchangeAlgorithmE1E18BlockedToStripedOpiEvPT4_
		.amdhsa_group_segment_fixed_size 0
		.amdhsa_private_segment_fixed_size 0
		.amdhsa_kernarg_size 8
		.amdhsa_user_sgpr_count 6
		.amdhsa_user_sgpr_private_segment_buffer 1
		.amdhsa_user_sgpr_dispatch_ptr 0
		.amdhsa_user_sgpr_queue_ptr 0
		.amdhsa_user_sgpr_kernarg_segment_ptr 1
		.amdhsa_user_sgpr_dispatch_id 0
		.amdhsa_user_sgpr_flat_scratch_init 0
		.amdhsa_user_sgpr_private_segment_size 0
		.amdhsa_wavefront_size32 1
		.amdhsa_uses_dynamic_stack 0
		.amdhsa_system_sgpr_private_segment_wavefront_offset 0
		.amdhsa_system_sgpr_workgroup_id_x 1
		.amdhsa_system_sgpr_workgroup_id_y 0
		.amdhsa_system_sgpr_workgroup_id_z 0
		.amdhsa_system_sgpr_workgroup_info 0
		.amdhsa_system_vgpr_workitem_id 0
		.amdhsa_next_free_vgpr 6
		.amdhsa_next_free_sgpr 7
		.amdhsa_reserve_vcc 1
		.amdhsa_reserve_flat_scratch 0
		.amdhsa_float_round_mode_32 0
		.amdhsa_float_round_mode_16_64 0
		.amdhsa_float_denorm_mode_32 3
		.amdhsa_float_denorm_mode_16_64 3
		.amdhsa_dx10_clamp 1
		.amdhsa_ieee_mode 1
		.amdhsa_fp16_overflow 0
		.amdhsa_workgroup_processor_mode 1
		.amdhsa_memory_ordered 1
		.amdhsa_forward_progress 1
		.amdhsa_shared_vgpr_count 0
		.amdhsa_exception_fp_ieee_invalid_op 0
		.amdhsa_exception_fp_denorm_src 0
		.amdhsa_exception_fp_ieee_div_zero 0
		.amdhsa_exception_fp_ieee_overflow 0
		.amdhsa_exception_fp_ieee_underflow 0
		.amdhsa_exception_fp_ieee_inexact 0
		.amdhsa_exception_int_div_zero 0
	.end_amdhsa_kernel
	.section	.text._Z20warp_exchange_kernelILj128ELj4ELj16ELN6hipcub21WarpExchangeAlgorithmE1E18BlockedToStripedOpiEvPT4_,"axG",@progbits,_Z20warp_exchange_kernelILj128ELj4ELj16ELN6hipcub21WarpExchangeAlgorithmE1E18BlockedToStripedOpiEvPT4_,comdat
.Lfunc_end14:
	.size	_Z20warp_exchange_kernelILj128ELj4ELj16ELN6hipcub21WarpExchangeAlgorithmE1E18BlockedToStripedOpiEvPT4_, .Lfunc_end14-_Z20warp_exchange_kernelILj128ELj4ELj16ELN6hipcub21WarpExchangeAlgorithmE1E18BlockedToStripedOpiEvPT4_
                                        ; -- End function
	.set _Z20warp_exchange_kernelILj128ELj4ELj16ELN6hipcub21WarpExchangeAlgorithmE1E18BlockedToStripedOpiEvPT4_.num_vgpr, 6
	.set _Z20warp_exchange_kernelILj128ELj4ELj16ELN6hipcub21WarpExchangeAlgorithmE1E18BlockedToStripedOpiEvPT4_.num_agpr, 0
	.set _Z20warp_exchange_kernelILj128ELj4ELj16ELN6hipcub21WarpExchangeAlgorithmE1E18BlockedToStripedOpiEvPT4_.numbered_sgpr, 7
	.set _Z20warp_exchange_kernelILj128ELj4ELj16ELN6hipcub21WarpExchangeAlgorithmE1E18BlockedToStripedOpiEvPT4_.num_named_barrier, 0
	.set _Z20warp_exchange_kernelILj128ELj4ELj16ELN6hipcub21WarpExchangeAlgorithmE1E18BlockedToStripedOpiEvPT4_.private_seg_size, 0
	.set _Z20warp_exchange_kernelILj128ELj4ELj16ELN6hipcub21WarpExchangeAlgorithmE1E18BlockedToStripedOpiEvPT4_.uses_vcc, 1
	.set _Z20warp_exchange_kernelILj128ELj4ELj16ELN6hipcub21WarpExchangeAlgorithmE1E18BlockedToStripedOpiEvPT4_.uses_flat_scratch, 0
	.set _Z20warp_exchange_kernelILj128ELj4ELj16ELN6hipcub21WarpExchangeAlgorithmE1E18BlockedToStripedOpiEvPT4_.has_dyn_sized_stack, 0
	.set _Z20warp_exchange_kernelILj128ELj4ELj16ELN6hipcub21WarpExchangeAlgorithmE1E18BlockedToStripedOpiEvPT4_.has_recursion, 0
	.set _Z20warp_exchange_kernelILj128ELj4ELj16ELN6hipcub21WarpExchangeAlgorithmE1E18BlockedToStripedOpiEvPT4_.has_indirect_call, 0
	.section	.AMDGPU.csdata,"",@progbits
; Kernel info:
; codeLenInByte = 116
; TotalNumSgprs: 9
; NumVgprs: 6
; ScratchSize: 0
; MemoryBound: 0
; FloatMode: 240
; IeeeMode: 1
; LDSByteSize: 0 bytes/workgroup (compile time only)
; SGPRBlocks: 0
; VGPRBlocks: 0
; NumSGPRsForWavesPerEU: 9
; NumVGPRsForWavesPerEU: 6
; Occupancy: 16
; WaveLimiterHint : 0
; COMPUTE_PGM_RSRC2:SCRATCH_EN: 0
; COMPUTE_PGM_RSRC2:USER_SGPR: 6
; COMPUTE_PGM_RSRC2:TRAP_HANDLER: 0
; COMPUTE_PGM_RSRC2:TGID_X_EN: 1
; COMPUTE_PGM_RSRC2:TGID_Y_EN: 0
; COMPUTE_PGM_RSRC2:TGID_Z_EN: 0
; COMPUTE_PGM_RSRC2:TIDIG_COMP_CNT: 0
	.section	.text._Z20warp_exchange_kernelILj128ELj4ELj32ELN6hipcub21WarpExchangeAlgorithmE1E18StripedToBlockedOpiEvPT4_,"axG",@progbits,_Z20warp_exchange_kernelILj128ELj4ELj32ELN6hipcub21WarpExchangeAlgorithmE1E18StripedToBlockedOpiEvPT4_,comdat
	.protected	_Z20warp_exchange_kernelILj128ELj4ELj32ELN6hipcub21WarpExchangeAlgorithmE1E18StripedToBlockedOpiEvPT4_ ; -- Begin function _Z20warp_exchange_kernelILj128ELj4ELj32ELN6hipcub21WarpExchangeAlgorithmE1E18StripedToBlockedOpiEvPT4_
	.globl	_Z20warp_exchange_kernelILj128ELj4ELj32ELN6hipcub21WarpExchangeAlgorithmE1E18StripedToBlockedOpiEvPT4_
	.p2align	8
	.type	_Z20warp_exchange_kernelILj128ELj4ELj32ELN6hipcub21WarpExchangeAlgorithmE1E18StripedToBlockedOpiEvPT4_,@function
_Z20warp_exchange_kernelILj128ELj4ELj32ELN6hipcub21WarpExchangeAlgorithmE1E18StripedToBlockedOpiEvPT4_: ; @_Z20warp_exchange_kernelILj128ELj4ELj32ELN6hipcub21WarpExchangeAlgorithmE1E18StripedToBlockedOpiEvPT4_
; %bb.0:
	v_mbcnt_lo_u32_b32 v1, -1, 0
	s_load_dwordx2 s[0:1], s[4:5], 0x0
	v_lshlrev_b32_e32 v0, 2, v0
	v_mov_b32_e32 v2, 0
	v_lshrrev_b32_e32 v3, 3, v1
	v_cmp_eq_u32_e32 vcc_lo, 1, v3
	v_cndmask_b32_e64 v1, 0, 1, vcc_lo
	v_cmp_ne_u32_e32 vcc_lo, 2, v3
	v_cndmask_b32_e32 v4, 2, v1, vcc_lo
	v_lshl_or_b32 v1, s6, 9, v0
	v_cmp_ne_u32_e32 vcc_lo, 3, v3
	v_cndmask_b32_e32 v0, 3, v4, vcc_lo
	v_lshlrev_b64 v[4:5], 2, v[1:2]
	v_mov_b32_e32 v1, v0
	v_mov_b32_e32 v2, v0
	s_waitcnt lgkmcnt(0)
	v_add_co_u32 v4, vcc_lo, s0, v4
	v_mov_b32_e32 v3, v0
	v_add_co_ci_u32_e64 v5, null, s1, v5, vcc_lo
	global_store_dwordx4 v[4:5], v[0:3], off
	s_endpgm
	.section	.rodata,"a",@progbits
	.p2align	6, 0x0
	.amdhsa_kernel _Z20warp_exchange_kernelILj128ELj4ELj32ELN6hipcub21WarpExchangeAlgorithmE1E18StripedToBlockedOpiEvPT4_
		.amdhsa_group_segment_fixed_size 0
		.amdhsa_private_segment_fixed_size 0
		.amdhsa_kernarg_size 8
		.amdhsa_user_sgpr_count 6
		.amdhsa_user_sgpr_private_segment_buffer 1
		.amdhsa_user_sgpr_dispatch_ptr 0
		.amdhsa_user_sgpr_queue_ptr 0
		.amdhsa_user_sgpr_kernarg_segment_ptr 1
		.amdhsa_user_sgpr_dispatch_id 0
		.amdhsa_user_sgpr_flat_scratch_init 0
		.amdhsa_user_sgpr_private_segment_size 0
		.amdhsa_wavefront_size32 1
		.amdhsa_uses_dynamic_stack 0
		.amdhsa_system_sgpr_private_segment_wavefront_offset 0
		.amdhsa_system_sgpr_workgroup_id_x 1
		.amdhsa_system_sgpr_workgroup_id_y 0
		.amdhsa_system_sgpr_workgroup_id_z 0
		.amdhsa_system_sgpr_workgroup_info 0
		.amdhsa_system_vgpr_workitem_id 0
		.amdhsa_next_free_vgpr 6
		.amdhsa_next_free_sgpr 7
		.amdhsa_reserve_vcc 1
		.amdhsa_reserve_flat_scratch 0
		.amdhsa_float_round_mode_32 0
		.amdhsa_float_round_mode_16_64 0
		.amdhsa_float_denorm_mode_32 3
		.amdhsa_float_denorm_mode_16_64 3
		.amdhsa_dx10_clamp 1
		.amdhsa_ieee_mode 1
		.amdhsa_fp16_overflow 0
		.amdhsa_workgroup_processor_mode 1
		.amdhsa_memory_ordered 1
		.amdhsa_forward_progress 1
		.amdhsa_shared_vgpr_count 0
		.amdhsa_exception_fp_ieee_invalid_op 0
		.amdhsa_exception_fp_denorm_src 0
		.amdhsa_exception_fp_ieee_div_zero 0
		.amdhsa_exception_fp_ieee_overflow 0
		.amdhsa_exception_fp_ieee_underflow 0
		.amdhsa_exception_fp_ieee_inexact 0
		.amdhsa_exception_int_div_zero 0
	.end_amdhsa_kernel
	.section	.text._Z20warp_exchange_kernelILj128ELj4ELj32ELN6hipcub21WarpExchangeAlgorithmE1E18StripedToBlockedOpiEvPT4_,"axG",@progbits,_Z20warp_exchange_kernelILj128ELj4ELj32ELN6hipcub21WarpExchangeAlgorithmE1E18StripedToBlockedOpiEvPT4_,comdat
.Lfunc_end15:
	.size	_Z20warp_exchange_kernelILj128ELj4ELj32ELN6hipcub21WarpExchangeAlgorithmE1E18StripedToBlockedOpiEvPT4_, .Lfunc_end15-_Z20warp_exchange_kernelILj128ELj4ELj32ELN6hipcub21WarpExchangeAlgorithmE1E18StripedToBlockedOpiEvPT4_
                                        ; -- End function
	.set _Z20warp_exchange_kernelILj128ELj4ELj32ELN6hipcub21WarpExchangeAlgorithmE1E18StripedToBlockedOpiEvPT4_.num_vgpr, 6
	.set _Z20warp_exchange_kernelILj128ELj4ELj32ELN6hipcub21WarpExchangeAlgorithmE1E18StripedToBlockedOpiEvPT4_.num_agpr, 0
	.set _Z20warp_exchange_kernelILj128ELj4ELj32ELN6hipcub21WarpExchangeAlgorithmE1E18StripedToBlockedOpiEvPT4_.numbered_sgpr, 7
	.set _Z20warp_exchange_kernelILj128ELj4ELj32ELN6hipcub21WarpExchangeAlgorithmE1E18StripedToBlockedOpiEvPT4_.num_named_barrier, 0
	.set _Z20warp_exchange_kernelILj128ELj4ELj32ELN6hipcub21WarpExchangeAlgorithmE1E18StripedToBlockedOpiEvPT4_.private_seg_size, 0
	.set _Z20warp_exchange_kernelILj128ELj4ELj32ELN6hipcub21WarpExchangeAlgorithmE1E18StripedToBlockedOpiEvPT4_.uses_vcc, 1
	.set _Z20warp_exchange_kernelILj128ELj4ELj32ELN6hipcub21WarpExchangeAlgorithmE1E18StripedToBlockedOpiEvPT4_.uses_flat_scratch, 0
	.set _Z20warp_exchange_kernelILj128ELj4ELj32ELN6hipcub21WarpExchangeAlgorithmE1E18StripedToBlockedOpiEvPT4_.has_dyn_sized_stack, 0
	.set _Z20warp_exchange_kernelILj128ELj4ELj32ELN6hipcub21WarpExchangeAlgorithmE1E18StripedToBlockedOpiEvPT4_.has_recursion, 0
	.set _Z20warp_exchange_kernelILj128ELj4ELj32ELN6hipcub21WarpExchangeAlgorithmE1E18StripedToBlockedOpiEvPT4_.has_indirect_call, 0
	.section	.AMDGPU.csdata,"",@progbits
; Kernel info:
; codeLenInByte = 116
; TotalNumSgprs: 9
; NumVgprs: 6
; ScratchSize: 0
; MemoryBound: 0
; FloatMode: 240
; IeeeMode: 1
; LDSByteSize: 0 bytes/workgroup (compile time only)
; SGPRBlocks: 0
; VGPRBlocks: 0
; NumSGPRsForWavesPerEU: 9
; NumVGPRsForWavesPerEU: 6
; Occupancy: 16
; WaveLimiterHint : 0
; COMPUTE_PGM_RSRC2:SCRATCH_EN: 0
; COMPUTE_PGM_RSRC2:USER_SGPR: 6
; COMPUTE_PGM_RSRC2:TRAP_HANDLER: 0
; COMPUTE_PGM_RSRC2:TGID_X_EN: 1
; COMPUTE_PGM_RSRC2:TGID_Y_EN: 0
; COMPUTE_PGM_RSRC2:TGID_Z_EN: 0
; COMPUTE_PGM_RSRC2:TIDIG_COMP_CNT: 0
	.section	.text._Z20warp_exchange_kernelILj128ELj4ELj32ELN6hipcub21WarpExchangeAlgorithmE1E18BlockedToStripedOpiEvPT4_,"axG",@progbits,_Z20warp_exchange_kernelILj128ELj4ELj32ELN6hipcub21WarpExchangeAlgorithmE1E18BlockedToStripedOpiEvPT4_,comdat
	.protected	_Z20warp_exchange_kernelILj128ELj4ELj32ELN6hipcub21WarpExchangeAlgorithmE1E18BlockedToStripedOpiEvPT4_ ; -- Begin function _Z20warp_exchange_kernelILj128ELj4ELj32ELN6hipcub21WarpExchangeAlgorithmE1E18BlockedToStripedOpiEvPT4_
	.globl	_Z20warp_exchange_kernelILj128ELj4ELj32ELN6hipcub21WarpExchangeAlgorithmE1E18BlockedToStripedOpiEvPT4_
	.p2align	8
	.type	_Z20warp_exchange_kernelILj128ELj4ELj32ELN6hipcub21WarpExchangeAlgorithmE1E18BlockedToStripedOpiEvPT4_,@function
_Z20warp_exchange_kernelILj128ELj4ELj32ELN6hipcub21WarpExchangeAlgorithmE1E18BlockedToStripedOpiEvPT4_: ; @_Z20warp_exchange_kernelILj128ELj4ELj32ELN6hipcub21WarpExchangeAlgorithmE1E18BlockedToStripedOpiEvPT4_
; %bb.0:
	v_mbcnt_lo_u32_b32 v1, -1, 0
	s_load_dwordx2 s[0:1], s[4:5], 0x0
	v_lshlrev_b32_e32 v0, 2, v0
	v_mov_b32_e32 v2, 0
	v_and_b32_e32 v3, 3, v1
	v_cmp_eq_u32_e32 vcc_lo, 1, v3
	v_cndmask_b32_e64 v1, 0, 1, vcc_lo
	v_cmp_ne_u32_e32 vcc_lo, 2, v3
	v_cndmask_b32_e32 v4, 2, v1, vcc_lo
	v_lshl_or_b32 v1, s6, 9, v0
	v_cmp_ne_u32_e32 vcc_lo, 3, v3
	v_cndmask_b32_e32 v0, 3, v4, vcc_lo
	v_lshlrev_b64 v[4:5], 2, v[1:2]
	v_mov_b32_e32 v1, v0
	v_mov_b32_e32 v2, v0
	s_waitcnt lgkmcnt(0)
	v_add_co_u32 v4, vcc_lo, s0, v4
	v_mov_b32_e32 v3, v0
	v_add_co_ci_u32_e64 v5, null, s1, v5, vcc_lo
	global_store_dwordx4 v[4:5], v[0:3], off
	s_endpgm
	.section	.rodata,"a",@progbits
	.p2align	6, 0x0
	.amdhsa_kernel _Z20warp_exchange_kernelILj128ELj4ELj32ELN6hipcub21WarpExchangeAlgorithmE1E18BlockedToStripedOpiEvPT4_
		.amdhsa_group_segment_fixed_size 0
		.amdhsa_private_segment_fixed_size 0
		.amdhsa_kernarg_size 8
		.amdhsa_user_sgpr_count 6
		.amdhsa_user_sgpr_private_segment_buffer 1
		.amdhsa_user_sgpr_dispatch_ptr 0
		.amdhsa_user_sgpr_queue_ptr 0
		.amdhsa_user_sgpr_kernarg_segment_ptr 1
		.amdhsa_user_sgpr_dispatch_id 0
		.amdhsa_user_sgpr_flat_scratch_init 0
		.amdhsa_user_sgpr_private_segment_size 0
		.amdhsa_wavefront_size32 1
		.amdhsa_uses_dynamic_stack 0
		.amdhsa_system_sgpr_private_segment_wavefront_offset 0
		.amdhsa_system_sgpr_workgroup_id_x 1
		.amdhsa_system_sgpr_workgroup_id_y 0
		.amdhsa_system_sgpr_workgroup_id_z 0
		.amdhsa_system_sgpr_workgroup_info 0
		.amdhsa_system_vgpr_workitem_id 0
		.amdhsa_next_free_vgpr 6
		.amdhsa_next_free_sgpr 7
		.amdhsa_reserve_vcc 1
		.amdhsa_reserve_flat_scratch 0
		.amdhsa_float_round_mode_32 0
		.amdhsa_float_round_mode_16_64 0
		.amdhsa_float_denorm_mode_32 3
		.amdhsa_float_denorm_mode_16_64 3
		.amdhsa_dx10_clamp 1
		.amdhsa_ieee_mode 1
		.amdhsa_fp16_overflow 0
		.amdhsa_workgroup_processor_mode 1
		.amdhsa_memory_ordered 1
		.amdhsa_forward_progress 1
		.amdhsa_shared_vgpr_count 0
		.amdhsa_exception_fp_ieee_invalid_op 0
		.amdhsa_exception_fp_denorm_src 0
		.amdhsa_exception_fp_ieee_div_zero 0
		.amdhsa_exception_fp_ieee_overflow 0
		.amdhsa_exception_fp_ieee_underflow 0
		.amdhsa_exception_fp_ieee_inexact 0
		.amdhsa_exception_int_div_zero 0
	.end_amdhsa_kernel
	.section	.text._Z20warp_exchange_kernelILj128ELj4ELj32ELN6hipcub21WarpExchangeAlgorithmE1E18BlockedToStripedOpiEvPT4_,"axG",@progbits,_Z20warp_exchange_kernelILj128ELj4ELj32ELN6hipcub21WarpExchangeAlgorithmE1E18BlockedToStripedOpiEvPT4_,comdat
.Lfunc_end16:
	.size	_Z20warp_exchange_kernelILj128ELj4ELj32ELN6hipcub21WarpExchangeAlgorithmE1E18BlockedToStripedOpiEvPT4_, .Lfunc_end16-_Z20warp_exchange_kernelILj128ELj4ELj32ELN6hipcub21WarpExchangeAlgorithmE1E18BlockedToStripedOpiEvPT4_
                                        ; -- End function
	.set _Z20warp_exchange_kernelILj128ELj4ELj32ELN6hipcub21WarpExchangeAlgorithmE1E18BlockedToStripedOpiEvPT4_.num_vgpr, 6
	.set _Z20warp_exchange_kernelILj128ELj4ELj32ELN6hipcub21WarpExchangeAlgorithmE1E18BlockedToStripedOpiEvPT4_.num_agpr, 0
	.set _Z20warp_exchange_kernelILj128ELj4ELj32ELN6hipcub21WarpExchangeAlgorithmE1E18BlockedToStripedOpiEvPT4_.numbered_sgpr, 7
	.set _Z20warp_exchange_kernelILj128ELj4ELj32ELN6hipcub21WarpExchangeAlgorithmE1E18BlockedToStripedOpiEvPT4_.num_named_barrier, 0
	.set _Z20warp_exchange_kernelILj128ELj4ELj32ELN6hipcub21WarpExchangeAlgorithmE1E18BlockedToStripedOpiEvPT4_.private_seg_size, 0
	.set _Z20warp_exchange_kernelILj128ELj4ELj32ELN6hipcub21WarpExchangeAlgorithmE1E18BlockedToStripedOpiEvPT4_.uses_vcc, 1
	.set _Z20warp_exchange_kernelILj128ELj4ELj32ELN6hipcub21WarpExchangeAlgorithmE1E18BlockedToStripedOpiEvPT4_.uses_flat_scratch, 0
	.set _Z20warp_exchange_kernelILj128ELj4ELj32ELN6hipcub21WarpExchangeAlgorithmE1E18BlockedToStripedOpiEvPT4_.has_dyn_sized_stack, 0
	.set _Z20warp_exchange_kernelILj128ELj4ELj32ELN6hipcub21WarpExchangeAlgorithmE1E18BlockedToStripedOpiEvPT4_.has_recursion, 0
	.set _Z20warp_exchange_kernelILj128ELj4ELj32ELN6hipcub21WarpExchangeAlgorithmE1E18BlockedToStripedOpiEvPT4_.has_indirect_call, 0
	.section	.AMDGPU.csdata,"",@progbits
; Kernel info:
; codeLenInByte = 116
; TotalNumSgprs: 9
; NumVgprs: 6
; ScratchSize: 0
; MemoryBound: 0
; FloatMode: 240
; IeeeMode: 1
; LDSByteSize: 0 bytes/workgroup (compile time only)
; SGPRBlocks: 0
; VGPRBlocks: 0
; NumSGPRsForWavesPerEU: 9
; NumVGPRsForWavesPerEU: 6
; Occupancy: 16
; WaveLimiterHint : 0
; COMPUTE_PGM_RSRC2:SCRATCH_EN: 0
; COMPUTE_PGM_RSRC2:USER_SGPR: 6
; COMPUTE_PGM_RSRC2:TRAP_HANDLER: 0
; COMPUTE_PGM_RSRC2:TGID_X_EN: 1
; COMPUTE_PGM_RSRC2:TGID_Y_EN: 0
; COMPUTE_PGM_RSRC2:TGID_Z_EN: 0
; COMPUTE_PGM_RSRC2:TIDIG_COMP_CNT: 0
	.section	.text._Z20warp_exchange_kernelILj256ELj4ELj32ELN6hipcub21WarpExchangeAlgorithmE1E18StripedToBlockedOpiEvPT4_,"axG",@progbits,_Z20warp_exchange_kernelILj256ELj4ELj32ELN6hipcub21WarpExchangeAlgorithmE1E18StripedToBlockedOpiEvPT4_,comdat
	.protected	_Z20warp_exchange_kernelILj256ELj4ELj32ELN6hipcub21WarpExchangeAlgorithmE1E18StripedToBlockedOpiEvPT4_ ; -- Begin function _Z20warp_exchange_kernelILj256ELj4ELj32ELN6hipcub21WarpExchangeAlgorithmE1E18StripedToBlockedOpiEvPT4_
	.globl	_Z20warp_exchange_kernelILj256ELj4ELj32ELN6hipcub21WarpExchangeAlgorithmE1E18StripedToBlockedOpiEvPT4_
	.p2align	8
	.type	_Z20warp_exchange_kernelILj256ELj4ELj32ELN6hipcub21WarpExchangeAlgorithmE1E18StripedToBlockedOpiEvPT4_,@function
_Z20warp_exchange_kernelILj256ELj4ELj32ELN6hipcub21WarpExchangeAlgorithmE1E18StripedToBlockedOpiEvPT4_: ; @_Z20warp_exchange_kernelILj256ELj4ELj32ELN6hipcub21WarpExchangeAlgorithmE1E18StripedToBlockedOpiEvPT4_
; %bb.0:
	v_mbcnt_lo_u32_b32 v1, -1, 0
	s_load_dwordx2 s[0:1], s[4:5], 0x0
	v_lshlrev_b32_e32 v0, 2, v0
	v_mov_b32_e32 v2, 0
	v_lshrrev_b32_e32 v3, 3, v1
	v_cmp_eq_u32_e32 vcc_lo, 1, v3
	v_cndmask_b32_e64 v1, 0, 1, vcc_lo
	v_cmp_ne_u32_e32 vcc_lo, 2, v3
	v_cndmask_b32_e32 v4, 2, v1, vcc_lo
	v_lshl_or_b32 v1, s6, 10, v0
	v_cmp_ne_u32_e32 vcc_lo, 3, v3
	v_cndmask_b32_e32 v0, 3, v4, vcc_lo
	v_lshlrev_b64 v[4:5], 2, v[1:2]
	v_mov_b32_e32 v1, v0
	v_mov_b32_e32 v2, v0
	s_waitcnt lgkmcnt(0)
	v_add_co_u32 v4, vcc_lo, s0, v4
	v_mov_b32_e32 v3, v0
	v_add_co_ci_u32_e64 v5, null, s1, v5, vcc_lo
	global_store_dwordx4 v[4:5], v[0:3], off
	s_endpgm
	.section	.rodata,"a",@progbits
	.p2align	6, 0x0
	.amdhsa_kernel _Z20warp_exchange_kernelILj256ELj4ELj32ELN6hipcub21WarpExchangeAlgorithmE1E18StripedToBlockedOpiEvPT4_
		.amdhsa_group_segment_fixed_size 0
		.amdhsa_private_segment_fixed_size 0
		.amdhsa_kernarg_size 8
		.amdhsa_user_sgpr_count 6
		.amdhsa_user_sgpr_private_segment_buffer 1
		.amdhsa_user_sgpr_dispatch_ptr 0
		.amdhsa_user_sgpr_queue_ptr 0
		.amdhsa_user_sgpr_kernarg_segment_ptr 1
		.amdhsa_user_sgpr_dispatch_id 0
		.amdhsa_user_sgpr_flat_scratch_init 0
		.amdhsa_user_sgpr_private_segment_size 0
		.amdhsa_wavefront_size32 1
		.amdhsa_uses_dynamic_stack 0
		.amdhsa_system_sgpr_private_segment_wavefront_offset 0
		.amdhsa_system_sgpr_workgroup_id_x 1
		.amdhsa_system_sgpr_workgroup_id_y 0
		.amdhsa_system_sgpr_workgroup_id_z 0
		.amdhsa_system_sgpr_workgroup_info 0
		.amdhsa_system_vgpr_workitem_id 0
		.amdhsa_next_free_vgpr 6
		.amdhsa_next_free_sgpr 7
		.amdhsa_reserve_vcc 1
		.amdhsa_reserve_flat_scratch 0
		.amdhsa_float_round_mode_32 0
		.amdhsa_float_round_mode_16_64 0
		.amdhsa_float_denorm_mode_32 3
		.amdhsa_float_denorm_mode_16_64 3
		.amdhsa_dx10_clamp 1
		.amdhsa_ieee_mode 1
		.amdhsa_fp16_overflow 0
		.amdhsa_workgroup_processor_mode 1
		.amdhsa_memory_ordered 1
		.amdhsa_forward_progress 1
		.amdhsa_shared_vgpr_count 0
		.amdhsa_exception_fp_ieee_invalid_op 0
		.amdhsa_exception_fp_denorm_src 0
		.amdhsa_exception_fp_ieee_div_zero 0
		.amdhsa_exception_fp_ieee_overflow 0
		.amdhsa_exception_fp_ieee_underflow 0
		.amdhsa_exception_fp_ieee_inexact 0
		.amdhsa_exception_int_div_zero 0
	.end_amdhsa_kernel
	.section	.text._Z20warp_exchange_kernelILj256ELj4ELj32ELN6hipcub21WarpExchangeAlgorithmE1E18StripedToBlockedOpiEvPT4_,"axG",@progbits,_Z20warp_exchange_kernelILj256ELj4ELj32ELN6hipcub21WarpExchangeAlgorithmE1E18StripedToBlockedOpiEvPT4_,comdat
.Lfunc_end17:
	.size	_Z20warp_exchange_kernelILj256ELj4ELj32ELN6hipcub21WarpExchangeAlgorithmE1E18StripedToBlockedOpiEvPT4_, .Lfunc_end17-_Z20warp_exchange_kernelILj256ELj4ELj32ELN6hipcub21WarpExchangeAlgorithmE1E18StripedToBlockedOpiEvPT4_
                                        ; -- End function
	.set _Z20warp_exchange_kernelILj256ELj4ELj32ELN6hipcub21WarpExchangeAlgorithmE1E18StripedToBlockedOpiEvPT4_.num_vgpr, 6
	.set _Z20warp_exchange_kernelILj256ELj4ELj32ELN6hipcub21WarpExchangeAlgorithmE1E18StripedToBlockedOpiEvPT4_.num_agpr, 0
	.set _Z20warp_exchange_kernelILj256ELj4ELj32ELN6hipcub21WarpExchangeAlgorithmE1E18StripedToBlockedOpiEvPT4_.numbered_sgpr, 7
	.set _Z20warp_exchange_kernelILj256ELj4ELj32ELN6hipcub21WarpExchangeAlgorithmE1E18StripedToBlockedOpiEvPT4_.num_named_barrier, 0
	.set _Z20warp_exchange_kernelILj256ELj4ELj32ELN6hipcub21WarpExchangeAlgorithmE1E18StripedToBlockedOpiEvPT4_.private_seg_size, 0
	.set _Z20warp_exchange_kernelILj256ELj4ELj32ELN6hipcub21WarpExchangeAlgorithmE1E18StripedToBlockedOpiEvPT4_.uses_vcc, 1
	.set _Z20warp_exchange_kernelILj256ELj4ELj32ELN6hipcub21WarpExchangeAlgorithmE1E18StripedToBlockedOpiEvPT4_.uses_flat_scratch, 0
	.set _Z20warp_exchange_kernelILj256ELj4ELj32ELN6hipcub21WarpExchangeAlgorithmE1E18StripedToBlockedOpiEvPT4_.has_dyn_sized_stack, 0
	.set _Z20warp_exchange_kernelILj256ELj4ELj32ELN6hipcub21WarpExchangeAlgorithmE1E18StripedToBlockedOpiEvPT4_.has_recursion, 0
	.set _Z20warp_exchange_kernelILj256ELj4ELj32ELN6hipcub21WarpExchangeAlgorithmE1E18StripedToBlockedOpiEvPT4_.has_indirect_call, 0
	.section	.AMDGPU.csdata,"",@progbits
; Kernel info:
; codeLenInByte = 116
; TotalNumSgprs: 9
; NumVgprs: 6
; ScratchSize: 0
; MemoryBound: 0
; FloatMode: 240
; IeeeMode: 1
; LDSByteSize: 0 bytes/workgroup (compile time only)
; SGPRBlocks: 0
; VGPRBlocks: 0
; NumSGPRsForWavesPerEU: 9
; NumVGPRsForWavesPerEU: 6
; Occupancy: 16
; WaveLimiterHint : 0
; COMPUTE_PGM_RSRC2:SCRATCH_EN: 0
; COMPUTE_PGM_RSRC2:USER_SGPR: 6
; COMPUTE_PGM_RSRC2:TRAP_HANDLER: 0
; COMPUTE_PGM_RSRC2:TGID_X_EN: 1
; COMPUTE_PGM_RSRC2:TGID_Y_EN: 0
; COMPUTE_PGM_RSRC2:TGID_Z_EN: 0
; COMPUTE_PGM_RSRC2:TIDIG_COMP_CNT: 0
	.section	.text._Z20warp_exchange_kernelILj256ELj4ELj32ELN6hipcub21WarpExchangeAlgorithmE1E18BlockedToStripedOpiEvPT4_,"axG",@progbits,_Z20warp_exchange_kernelILj256ELj4ELj32ELN6hipcub21WarpExchangeAlgorithmE1E18BlockedToStripedOpiEvPT4_,comdat
	.protected	_Z20warp_exchange_kernelILj256ELj4ELj32ELN6hipcub21WarpExchangeAlgorithmE1E18BlockedToStripedOpiEvPT4_ ; -- Begin function _Z20warp_exchange_kernelILj256ELj4ELj32ELN6hipcub21WarpExchangeAlgorithmE1E18BlockedToStripedOpiEvPT4_
	.globl	_Z20warp_exchange_kernelILj256ELj4ELj32ELN6hipcub21WarpExchangeAlgorithmE1E18BlockedToStripedOpiEvPT4_
	.p2align	8
	.type	_Z20warp_exchange_kernelILj256ELj4ELj32ELN6hipcub21WarpExchangeAlgorithmE1E18BlockedToStripedOpiEvPT4_,@function
_Z20warp_exchange_kernelILj256ELj4ELj32ELN6hipcub21WarpExchangeAlgorithmE1E18BlockedToStripedOpiEvPT4_: ; @_Z20warp_exchange_kernelILj256ELj4ELj32ELN6hipcub21WarpExchangeAlgorithmE1E18BlockedToStripedOpiEvPT4_
; %bb.0:
	v_mbcnt_lo_u32_b32 v1, -1, 0
	s_load_dwordx2 s[0:1], s[4:5], 0x0
	v_lshlrev_b32_e32 v0, 2, v0
	v_mov_b32_e32 v2, 0
	v_and_b32_e32 v3, 3, v1
	v_cmp_eq_u32_e32 vcc_lo, 1, v3
	v_cndmask_b32_e64 v1, 0, 1, vcc_lo
	v_cmp_ne_u32_e32 vcc_lo, 2, v3
	v_cndmask_b32_e32 v4, 2, v1, vcc_lo
	v_lshl_or_b32 v1, s6, 10, v0
	v_cmp_ne_u32_e32 vcc_lo, 3, v3
	v_cndmask_b32_e32 v0, 3, v4, vcc_lo
	v_lshlrev_b64 v[4:5], 2, v[1:2]
	v_mov_b32_e32 v1, v0
	v_mov_b32_e32 v2, v0
	s_waitcnt lgkmcnt(0)
	v_add_co_u32 v4, vcc_lo, s0, v4
	v_mov_b32_e32 v3, v0
	v_add_co_ci_u32_e64 v5, null, s1, v5, vcc_lo
	global_store_dwordx4 v[4:5], v[0:3], off
	s_endpgm
	.section	.rodata,"a",@progbits
	.p2align	6, 0x0
	.amdhsa_kernel _Z20warp_exchange_kernelILj256ELj4ELj32ELN6hipcub21WarpExchangeAlgorithmE1E18BlockedToStripedOpiEvPT4_
		.amdhsa_group_segment_fixed_size 0
		.amdhsa_private_segment_fixed_size 0
		.amdhsa_kernarg_size 8
		.amdhsa_user_sgpr_count 6
		.amdhsa_user_sgpr_private_segment_buffer 1
		.amdhsa_user_sgpr_dispatch_ptr 0
		.amdhsa_user_sgpr_queue_ptr 0
		.amdhsa_user_sgpr_kernarg_segment_ptr 1
		.amdhsa_user_sgpr_dispatch_id 0
		.amdhsa_user_sgpr_flat_scratch_init 0
		.amdhsa_user_sgpr_private_segment_size 0
		.amdhsa_wavefront_size32 1
		.amdhsa_uses_dynamic_stack 0
		.amdhsa_system_sgpr_private_segment_wavefront_offset 0
		.amdhsa_system_sgpr_workgroup_id_x 1
		.amdhsa_system_sgpr_workgroup_id_y 0
		.amdhsa_system_sgpr_workgroup_id_z 0
		.amdhsa_system_sgpr_workgroup_info 0
		.amdhsa_system_vgpr_workitem_id 0
		.amdhsa_next_free_vgpr 6
		.amdhsa_next_free_sgpr 7
		.amdhsa_reserve_vcc 1
		.amdhsa_reserve_flat_scratch 0
		.amdhsa_float_round_mode_32 0
		.amdhsa_float_round_mode_16_64 0
		.amdhsa_float_denorm_mode_32 3
		.amdhsa_float_denorm_mode_16_64 3
		.amdhsa_dx10_clamp 1
		.amdhsa_ieee_mode 1
		.amdhsa_fp16_overflow 0
		.amdhsa_workgroup_processor_mode 1
		.amdhsa_memory_ordered 1
		.amdhsa_forward_progress 1
		.amdhsa_shared_vgpr_count 0
		.amdhsa_exception_fp_ieee_invalid_op 0
		.amdhsa_exception_fp_denorm_src 0
		.amdhsa_exception_fp_ieee_div_zero 0
		.amdhsa_exception_fp_ieee_overflow 0
		.amdhsa_exception_fp_ieee_underflow 0
		.amdhsa_exception_fp_ieee_inexact 0
		.amdhsa_exception_int_div_zero 0
	.end_amdhsa_kernel
	.section	.text._Z20warp_exchange_kernelILj256ELj4ELj32ELN6hipcub21WarpExchangeAlgorithmE1E18BlockedToStripedOpiEvPT4_,"axG",@progbits,_Z20warp_exchange_kernelILj256ELj4ELj32ELN6hipcub21WarpExchangeAlgorithmE1E18BlockedToStripedOpiEvPT4_,comdat
.Lfunc_end18:
	.size	_Z20warp_exchange_kernelILj256ELj4ELj32ELN6hipcub21WarpExchangeAlgorithmE1E18BlockedToStripedOpiEvPT4_, .Lfunc_end18-_Z20warp_exchange_kernelILj256ELj4ELj32ELN6hipcub21WarpExchangeAlgorithmE1E18BlockedToStripedOpiEvPT4_
                                        ; -- End function
	.set _Z20warp_exchange_kernelILj256ELj4ELj32ELN6hipcub21WarpExchangeAlgorithmE1E18BlockedToStripedOpiEvPT4_.num_vgpr, 6
	.set _Z20warp_exchange_kernelILj256ELj4ELj32ELN6hipcub21WarpExchangeAlgorithmE1E18BlockedToStripedOpiEvPT4_.num_agpr, 0
	.set _Z20warp_exchange_kernelILj256ELj4ELj32ELN6hipcub21WarpExchangeAlgorithmE1E18BlockedToStripedOpiEvPT4_.numbered_sgpr, 7
	.set _Z20warp_exchange_kernelILj256ELj4ELj32ELN6hipcub21WarpExchangeAlgorithmE1E18BlockedToStripedOpiEvPT4_.num_named_barrier, 0
	.set _Z20warp_exchange_kernelILj256ELj4ELj32ELN6hipcub21WarpExchangeAlgorithmE1E18BlockedToStripedOpiEvPT4_.private_seg_size, 0
	.set _Z20warp_exchange_kernelILj256ELj4ELj32ELN6hipcub21WarpExchangeAlgorithmE1E18BlockedToStripedOpiEvPT4_.uses_vcc, 1
	.set _Z20warp_exchange_kernelILj256ELj4ELj32ELN6hipcub21WarpExchangeAlgorithmE1E18BlockedToStripedOpiEvPT4_.uses_flat_scratch, 0
	.set _Z20warp_exchange_kernelILj256ELj4ELj32ELN6hipcub21WarpExchangeAlgorithmE1E18BlockedToStripedOpiEvPT4_.has_dyn_sized_stack, 0
	.set _Z20warp_exchange_kernelILj256ELj4ELj32ELN6hipcub21WarpExchangeAlgorithmE1E18BlockedToStripedOpiEvPT4_.has_recursion, 0
	.set _Z20warp_exchange_kernelILj256ELj4ELj32ELN6hipcub21WarpExchangeAlgorithmE1E18BlockedToStripedOpiEvPT4_.has_indirect_call, 0
	.section	.AMDGPU.csdata,"",@progbits
; Kernel info:
; codeLenInByte = 116
; TotalNumSgprs: 9
; NumVgprs: 6
; ScratchSize: 0
; MemoryBound: 0
; FloatMode: 240
; IeeeMode: 1
; LDSByteSize: 0 bytes/workgroup (compile time only)
; SGPRBlocks: 0
; VGPRBlocks: 0
; NumSGPRsForWavesPerEU: 9
; NumVGPRsForWavesPerEU: 6
; Occupancy: 16
; WaveLimiterHint : 0
; COMPUTE_PGM_RSRC2:SCRATCH_EN: 0
; COMPUTE_PGM_RSRC2:USER_SGPR: 6
; COMPUTE_PGM_RSRC2:TRAP_HANDLER: 0
; COMPUTE_PGM_RSRC2:TGID_X_EN: 1
; COMPUTE_PGM_RSRC2:TGID_Y_EN: 0
; COMPUTE_PGM_RSRC2:TGID_Z_EN: 0
; COMPUTE_PGM_RSRC2:TIDIG_COMP_CNT: 0
	.section	.text._Z20warp_exchange_kernelILj128ELj4ELj64ELN6hipcub21WarpExchangeAlgorithmE0E18StripedToBlockedOpiEvPT4_,"axG",@progbits,_Z20warp_exchange_kernelILj128ELj4ELj64ELN6hipcub21WarpExchangeAlgorithmE0E18StripedToBlockedOpiEvPT4_,comdat
	.protected	_Z20warp_exchange_kernelILj128ELj4ELj64ELN6hipcub21WarpExchangeAlgorithmE0E18StripedToBlockedOpiEvPT4_ ; -- Begin function _Z20warp_exchange_kernelILj128ELj4ELj64ELN6hipcub21WarpExchangeAlgorithmE0E18StripedToBlockedOpiEvPT4_
	.globl	_Z20warp_exchange_kernelILj128ELj4ELj64ELN6hipcub21WarpExchangeAlgorithmE0E18StripedToBlockedOpiEvPT4_
	.p2align	8
	.type	_Z20warp_exchange_kernelILj128ELj4ELj64ELN6hipcub21WarpExchangeAlgorithmE0E18StripedToBlockedOpiEvPT4_,@function
_Z20warp_exchange_kernelILj128ELj4ELj64ELN6hipcub21WarpExchangeAlgorithmE0E18StripedToBlockedOpiEvPT4_: ; @_Z20warp_exchange_kernelILj128ELj4ELj64ELN6hipcub21WarpExchangeAlgorithmE0E18StripedToBlockedOpiEvPT4_
; %bb.0:
	v_lshlrev_b32_e32 v1, 4, v0
	v_mbcnt_lo_u32_b32 v2, -1, 0
	s_load_dwordx2 s[0:1], s[4:5], 0x0
	v_mov_b32_e32 v5, 0
	v_mov_b32_e32 v4, 1
	v_and_b32_e32 v1, 0x400, v1
	v_lshlrev_b32_e32 v8, 2, v0
	v_mov_b32_e32 v3, 2
	v_mov_b32_e32 v7, 3
	v_lshl_or_b32 v6, v2, 2, v1
	v_lshl_or_b32 v0, v2, 4, v1
	ds_write2st64_b32 v6, v5, v4 offset1:1
	ds_write2st64_b32 v6, v3, v7 offset0:2 offset1:3
	; wave barrier
	ds_read_b128 v[0:3], v0
	v_lshl_or_b32 v4, s6, 9, v8
	v_lshlrev_b64 v[4:5], 2, v[4:5]
	s_waitcnt lgkmcnt(0)
	v_add_co_u32 v4, vcc_lo, s0, v4
	v_add_co_ci_u32_e64 v5, null, s1, v5, vcc_lo
	global_store_dwordx4 v[4:5], v[0:3], off
	s_endpgm
	.section	.rodata,"a",@progbits
	.p2align	6, 0x0
	.amdhsa_kernel _Z20warp_exchange_kernelILj128ELj4ELj64ELN6hipcub21WarpExchangeAlgorithmE0E18StripedToBlockedOpiEvPT4_
		.amdhsa_group_segment_fixed_size 2048
		.amdhsa_private_segment_fixed_size 0
		.amdhsa_kernarg_size 8
		.amdhsa_user_sgpr_count 6
		.amdhsa_user_sgpr_private_segment_buffer 1
		.amdhsa_user_sgpr_dispatch_ptr 0
		.amdhsa_user_sgpr_queue_ptr 0
		.amdhsa_user_sgpr_kernarg_segment_ptr 1
		.amdhsa_user_sgpr_dispatch_id 0
		.amdhsa_user_sgpr_flat_scratch_init 0
		.amdhsa_user_sgpr_private_segment_size 0
		.amdhsa_wavefront_size32 1
		.amdhsa_uses_dynamic_stack 0
		.amdhsa_system_sgpr_private_segment_wavefront_offset 0
		.amdhsa_system_sgpr_workgroup_id_x 1
		.amdhsa_system_sgpr_workgroup_id_y 0
		.amdhsa_system_sgpr_workgroup_id_z 0
		.amdhsa_system_sgpr_workgroup_info 0
		.amdhsa_system_vgpr_workitem_id 0
		.amdhsa_next_free_vgpr 9
		.amdhsa_next_free_sgpr 7
		.amdhsa_reserve_vcc 1
		.amdhsa_reserve_flat_scratch 0
		.amdhsa_float_round_mode_32 0
		.amdhsa_float_round_mode_16_64 0
		.amdhsa_float_denorm_mode_32 3
		.amdhsa_float_denorm_mode_16_64 3
		.amdhsa_dx10_clamp 1
		.amdhsa_ieee_mode 1
		.amdhsa_fp16_overflow 0
		.amdhsa_workgroup_processor_mode 1
		.amdhsa_memory_ordered 1
		.amdhsa_forward_progress 1
		.amdhsa_shared_vgpr_count 0
		.amdhsa_exception_fp_ieee_invalid_op 0
		.amdhsa_exception_fp_denorm_src 0
		.amdhsa_exception_fp_ieee_div_zero 0
		.amdhsa_exception_fp_ieee_overflow 0
		.amdhsa_exception_fp_ieee_underflow 0
		.amdhsa_exception_fp_ieee_inexact 0
		.amdhsa_exception_int_div_zero 0
	.end_amdhsa_kernel
	.section	.text._Z20warp_exchange_kernelILj128ELj4ELj64ELN6hipcub21WarpExchangeAlgorithmE0E18StripedToBlockedOpiEvPT4_,"axG",@progbits,_Z20warp_exchange_kernelILj128ELj4ELj64ELN6hipcub21WarpExchangeAlgorithmE0E18StripedToBlockedOpiEvPT4_,comdat
.Lfunc_end19:
	.size	_Z20warp_exchange_kernelILj128ELj4ELj64ELN6hipcub21WarpExchangeAlgorithmE0E18StripedToBlockedOpiEvPT4_, .Lfunc_end19-_Z20warp_exchange_kernelILj128ELj4ELj64ELN6hipcub21WarpExchangeAlgorithmE0E18StripedToBlockedOpiEvPT4_
                                        ; -- End function
	.set _Z20warp_exchange_kernelILj128ELj4ELj64ELN6hipcub21WarpExchangeAlgorithmE0E18StripedToBlockedOpiEvPT4_.num_vgpr, 9
	.set _Z20warp_exchange_kernelILj128ELj4ELj64ELN6hipcub21WarpExchangeAlgorithmE0E18StripedToBlockedOpiEvPT4_.num_agpr, 0
	.set _Z20warp_exchange_kernelILj128ELj4ELj64ELN6hipcub21WarpExchangeAlgorithmE0E18StripedToBlockedOpiEvPT4_.numbered_sgpr, 7
	.set _Z20warp_exchange_kernelILj128ELj4ELj64ELN6hipcub21WarpExchangeAlgorithmE0E18StripedToBlockedOpiEvPT4_.num_named_barrier, 0
	.set _Z20warp_exchange_kernelILj128ELj4ELj64ELN6hipcub21WarpExchangeAlgorithmE0E18StripedToBlockedOpiEvPT4_.private_seg_size, 0
	.set _Z20warp_exchange_kernelILj128ELj4ELj64ELN6hipcub21WarpExchangeAlgorithmE0E18StripedToBlockedOpiEvPT4_.uses_vcc, 1
	.set _Z20warp_exchange_kernelILj128ELj4ELj64ELN6hipcub21WarpExchangeAlgorithmE0E18StripedToBlockedOpiEvPT4_.uses_flat_scratch, 0
	.set _Z20warp_exchange_kernelILj128ELj4ELj64ELN6hipcub21WarpExchangeAlgorithmE0E18StripedToBlockedOpiEvPT4_.has_dyn_sized_stack, 0
	.set _Z20warp_exchange_kernelILj128ELj4ELj64ELN6hipcub21WarpExchangeAlgorithmE0E18StripedToBlockedOpiEvPT4_.has_recursion, 0
	.set _Z20warp_exchange_kernelILj128ELj4ELj64ELN6hipcub21WarpExchangeAlgorithmE0E18StripedToBlockedOpiEvPT4_.has_indirect_call, 0
	.section	.AMDGPU.csdata,"",@progbits
; Kernel info:
; codeLenInByte = 136
; TotalNumSgprs: 9
; NumVgprs: 9
; ScratchSize: 0
; MemoryBound: 0
; FloatMode: 240
; IeeeMode: 1
; LDSByteSize: 2048 bytes/workgroup (compile time only)
; SGPRBlocks: 0
; VGPRBlocks: 1
; NumSGPRsForWavesPerEU: 9
; NumVGPRsForWavesPerEU: 9
; Occupancy: 16
; WaveLimiterHint : 0
; COMPUTE_PGM_RSRC2:SCRATCH_EN: 0
; COMPUTE_PGM_RSRC2:USER_SGPR: 6
; COMPUTE_PGM_RSRC2:TRAP_HANDLER: 0
; COMPUTE_PGM_RSRC2:TGID_X_EN: 1
; COMPUTE_PGM_RSRC2:TGID_Y_EN: 0
; COMPUTE_PGM_RSRC2:TGID_Z_EN: 0
; COMPUTE_PGM_RSRC2:TIDIG_COMP_CNT: 0
	.section	.text._Z20warp_exchange_kernelILj128ELj4ELj64ELN6hipcub21WarpExchangeAlgorithmE1E18StripedToBlockedOpiEvPT4_,"axG",@progbits,_Z20warp_exchange_kernelILj128ELj4ELj64ELN6hipcub21WarpExchangeAlgorithmE1E18StripedToBlockedOpiEvPT4_,comdat
	.protected	_Z20warp_exchange_kernelILj128ELj4ELj64ELN6hipcub21WarpExchangeAlgorithmE1E18StripedToBlockedOpiEvPT4_ ; -- Begin function _Z20warp_exchange_kernelILj128ELj4ELj64ELN6hipcub21WarpExchangeAlgorithmE1E18StripedToBlockedOpiEvPT4_
	.globl	_Z20warp_exchange_kernelILj128ELj4ELj64ELN6hipcub21WarpExchangeAlgorithmE1E18StripedToBlockedOpiEvPT4_
	.p2align	8
	.type	_Z20warp_exchange_kernelILj128ELj4ELj64ELN6hipcub21WarpExchangeAlgorithmE1E18StripedToBlockedOpiEvPT4_,@function
_Z20warp_exchange_kernelILj128ELj4ELj64ELN6hipcub21WarpExchangeAlgorithmE1E18StripedToBlockedOpiEvPT4_: ; @_Z20warp_exchange_kernelILj128ELj4ELj64ELN6hipcub21WarpExchangeAlgorithmE1E18StripedToBlockedOpiEvPT4_
; %bb.0:
	v_mbcnt_lo_u32_b32 v1, -1, 0
	s_load_dwordx2 s[0:1], s[4:5], 0x0
	v_lshlrev_b32_e32 v0, 2, v0
	v_mov_b32_e32 v2, 0
	v_lshrrev_b32_e32 v3, 4, v1
	v_cmp_eq_u32_e32 vcc_lo, 1, v3
	v_cndmask_b32_e64 v1, 0, 1, vcc_lo
	v_cmp_ne_u32_e32 vcc_lo, 2, v3
	v_cndmask_b32_e32 v4, 2, v1, vcc_lo
	v_lshl_or_b32 v1, s6, 9, v0
	v_cmp_ne_u32_e32 vcc_lo, 3, v3
	v_cndmask_b32_e32 v0, 3, v4, vcc_lo
	v_lshlrev_b64 v[4:5], 2, v[1:2]
	v_mov_b32_e32 v1, v0
	v_mov_b32_e32 v2, v0
	s_waitcnt lgkmcnt(0)
	v_add_co_u32 v4, vcc_lo, s0, v4
	v_mov_b32_e32 v3, v0
	v_add_co_ci_u32_e64 v5, null, s1, v5, vcc_lo
	global_store_dwordx4 v[4:5], v[0:3], off
	s_endpgm
	.section	.rodata,"a",@progbits
	.p2align	6, 0x0
	.amdhsa_kernel _Z20warp_exchange_kernelILj128ELj4ELj64ELN6hipcub21WarpExchangeAlgorithmE1E18StripedToBlockedOpiEvPT4_
		.amdhsa_group_segment_fixed_size 0
		.amdhsa_private_segment_fixed_size 0
		.amdhsa_kernarg_size 8
		.amdhsa_user_sgpr_count 6
		.amdhsa_user_sgpr_private_segment_buffer 1
		.amdhsa_user_sgpr_dispatch_ptr 0
		.amdhsa_user_sgpr_queue_ptr 0
		.amdhsa_user_sgpr_kernarg_segment_ptr 1
		.amdhsa_user_sgpr_dispatch_id 0
		.amdhsa_user_sgpr_flat_scratch_init 0
		.amdhsa_user_sgpr_private_segment_size 0
		.amdhsa_wavefront_size32 1
		.amdhsa_uses_dynamic_stack 0
		.amdhsa_system_sgpr_private_segment_wavefront_offset 0
		.amdhsa_system_sgpr_workgroup_id_x 1
		.amdhsa_system_sgpr_workgroup_id_y 0
		.amdhsa_system_sgpr_workgroup_id_z 0
		.amdhsa_system_sgpr_workgroup_info 0
		.amdhsa_system_vgpr_workitem_id 0
		.amdhsa_next_free_vgpr 6
		.amdhsa_next_free_sgpr 7
		.amdhsa_reserve_vcc 1
		.amdhsa_reserve_flat_scratch 0
		.amdhsa_float_round_mode_32 0
		.amdhsa_float_round_mode_16_64 0
		.amdhsa_float_denorm_mode_32 3
		.amdhsa_float_denorm_mode_16_64 3
		.amdhsa_dx10_clamp 1
		.amdhsa_ieee_mode 1
		.amdhsa_fp16_overflow 0
		.amdhsa_workgroup_processor_mode 1
		.amdhsa_memory_ordered 1
		.amdhsa_forward_progress 1
		.amdhsa_shared_vgpr_count 0
		.amdhsa_exception_fp_ieee_invalid_op 0
		.amdhsa_exception_fp_denorm_src 0
		.amdhsa_exception_fp_ieee_div_zero 0
		.amdhsa_exception_fp_ieee_overflow 0
		.amdhsa_exception_fp_ieee_underflow 0
		.amdhsa_exception_fp_ieee_inexact 0
		.amdhsa_exception_int_div_zero 0
	.end_amdhsa_kernel
	.section	.text._Z20warp_exchange_kernelILj128ELj4ELj64ELN6hipcub21WarpExchangeAlgorithmE1E18StripedToBlockedOpiEvPT4_,"axG",@progbits,_Z20warp_exchange_kernelILj128ELj4ELj64ELN6hipcub21WarpExchangeAlgorithmE1E18StripedToBlockedOpiEvPT4_,comdat
.Lfunc_end20:
	.size	_Z20warp_exchange_kernelILj128ELj4ELj64ELN6hipcub21WarpExchangeAlgorithmE1E18StripedToBlockedOpiEvPT4_, .Lfunc_end20-_Z20warp_exchange_kernelILj128ELj4ELj64ELN6hipcub21WarpExchangeAlgorithmE1E18StripedToBlockedOpiEvPT4_
                                        ; -- End function
	.set _Z20warp_exchange_kernelILj128ELj4ELj64ELN6hipcub21WarpExchangeAlgorithmE1E18StripedToBlockedOpiEvPT4_.num_vgpr, 6
	.set _Z20warp_exchange_kernelILj128ELj4ELj64ELN6hipcub21WarpExchangeAlgorithmE1E18StripedToBlockedOpiEvPT4_.num_agpr, 0
	.set _Z20warp_exchange_kernelILj128ELj4ELj64ELN6hipcub21WarpExchangeAlgorithmE1E18StripedToBlockedOpiEvPT4_.numbered_sgpr, 7
	.set _Z20warp_exchange_kernelILj128ELj4ELj64ELN6hipcub21WarpExchangeAlgorithmE1E18StripedToBlockedOpiEvPT4_.num_named_barrier, 0
	.set _Z20warp_exchange_kernelILj128ELj4ELj64ELN6hipcub21WarpExchangeAlgorithmE1E18StripedToBlockedOpiEvPT4_.private_seg_size, 0
	.set _Z20warp_exchange_kernelILj128ELj4ELj64ELN6hipcub21WarpExchangeAlgorithmE1E18StripedToBlockedOpiEvPT4_.uses_vcc, 1
	.set _Z20warp_exchange_kernelILj128ELj4ELj64ELN6hipcub21WarpExchangeAlgorithmE1E18StripedToBlockedOpiEvPT4_.uses_flat_scratch, 0
	.set _Z20warp_exchange_kernelILj128ELj4ELj64ELN6hipcub21WarpExchangeAlgorithmE1E18StripedToBlockedOpiEvPT4_.has_dyn_sized_stack, 0
	.set _Z20warp_exchange_kernelILj128ELj4ELj64ELN6hipcub21WarpExchangeAlgorithmE1E18StripedToBlockedOpiEvPT4_.has_recursion, 0
	.set _Z20warp_exchange_kernelILj128ELj4ELj64ELN6hipcub21WarpExchangeAlgorithmE1E18StripedToBlockedOpiEvPT4_.has_indirect_call, 0
	.section	.AMDGPU.csdata,"",@progbits
; Kernel info:
; codeLenInByte = 116
; TotalNumSgprs: 9
; NumVgprs: 6
; ScratchSize: 0
; MemoryBound: 0
; FloatMode: 240
; IeeeMode: 1
; LDSByteSize: 0 bytes/workgroup (compile time only)
; SGPRBlocks: 0
; VGPRBlocks: 0
; NumSGPRsForWavesPerEU: 9
; NumVGPRsForWavesPerEU: 6
; Occupancy: 16
; WaveLimiterHint : 0
; COMPUTE_PGM_RSRC2:SCRATCH_EN: 0
; COMPUTE_PGM_RSRC2:USER_SGPR: 6
; COMPUTE_PGM_RSRC2:TRAP_HANDLER: 0
; COMPUTE_PGM_RSRC2:TGID_X_EN: 1
; COMPUTE_PGM_RSRC2:TGID_Y_EN: 0
; COMPUTE_PGM_RSRC2:TGID_Z_EN: 0
; COMPUTE_PGM_RSRC2:TIDIG_COMP_CNT: 0
	.section	.text._Z20warp_exchange_kernelILj128ELj4ELj64ELN6hipcub21WarpExchangeAlgorithmE0E18BlockedToStripedOpiEvPT4_,"axG",@progbits,_Z20warp_exchange_kernelILj128ELj4ELj64ELN6hipcub21WarpExchangeAlgorithmE0E18BlockedToStripedOpiEvPT4_,comdat
	.protected	_Z20warp_exchange_kernelILj128ELj4ELj64ELN6hipcub21WarpExchangeAlgorithmE0E18BlockedToStripedOpiEvPT4_ ; -- Begin function _Z20warp_exchange_kernelILj128ELj4ELj64ELN6hipcub21WarpExchangeAlgorithmE0E18BlockedToStripedOpiEvPT4_
	.globl	_Z20warp_exchange_kernelILj128ELj4ELj64ELN6hipcub21WarpExchangeAlgorithmE0E18BlockedToStripedOpiEvPT4_
	.p2align	8
	.type	_Z20warp_exchange_kernelILj128ELj4ELj64ELN6hipcub21WarpExchangeAlgorithmE0E18BlockedToStripedOpiEvPT4_,@function
_Z20warp_exchange_kernelILj128ELj4ELj64ELN6hipcub21WarpExchangeAlgorithmE0E18BlockedToStripedOpiEvPT4_: ; @_Z20warp_exchange_kernelILj128ELj4ELj64ELN6hipcub21WarpExchangeAlgorithmE0E18BlockedToStripedOpiEvPT4_
; %bb.0:
	v_lshlrev_b32_e32 v1, 4, v0
	v_mbcnt_lo_u32_b32 v5, -1, 0
	s_load_dwordx2 s[0:1], s[4:5], 0x0
	v_mov_b32_e32 v2, 1
	v_mov_b32_e32 v3, 2
	v_and_b32_e32 v6, 0x400, v1
	v_mov_b32_e32 v1, 0
	v_mov_b32_e32 v4, 3
	v_lshlrev_b32_e32 v0, 2, v0
	v_lshl_or_b32 v7, v5, 4, v6
	v_lshl_or_b32 v5, v5, 2, v6
	;; [unrolled: 1-line block ×3, first 2 shown]
	ds_write_b128 v7, v[1:4]
	; wave barrier
	ds_read2st64_b32 v[2:3], v5 offset1:1
	ds_read2st64_b32 v[4:5], v5 offset0:2 offset1:3
	v_lshlrev_b64 v[0:1], 2, v[0:1]
	s_waitcnt lgkmcnt(0)
	v_add_co_u32 v0, vcc_lo, s0, v0
	v_add_co_ci_u32_e64 v1, null, s1, v1, vcc_lo
	global_store_dwordx4 v[0:1], v[2:5], off
	s_endpgm
	.section	.rodata,"a",@progbits
	.p2align	6, 0x0
	.amdhsa_kernel _Z20warp_exchange_kernelILj128ELj4ELj64ELN6hipcub21WarpExchangeAlgorithmE0E18BlockedToStripedOpiEvPT4_
		.amdhsa_group_segment_fixed_size 2048
		.amdhsa_private_segment_fixed_size 0
		.amdhsa_kernarg_size 8
		.amdhsa_user_sgpr_count 6
		.amdhsa_user_sgpr_private_segment_buffer 1
		.amdhsa_user_sgpr_dispatch_ptr 0
		.amdhsa_user_sgpr_queue_ptr 0
		.amdhsa_user_sgpr_kernarg_segment_ptr 1
		.amdhsa_user_sgpr_dispatch_id 0
		.amdhsa_user_sgpr_flat_scratch_init 0
		.amdhsa_user_sgpr_private_segment_size 0
		.amdhsa_wavefront_size32 1
		.amdhsa_uses_dynamic_stack 0
		.amdhsa_system_sgpr_private_segment_wavefront_offset 0
		.amdhsa_system_sgpr_workgroup_id_x 1
		.amdhsa_system_sgpr_workgroup_id_y 0
		.amdhsa_system_sgpr_workgroup_id_z 0
		.amdhsa_system_sgpr_workgroup_info 0
		.amdhsa_system_vgpr_workitem_id 0
		.amdhsa_next_free_vgpr 8
		.amdhsa_next_free_sgpr 7
		.amdhsa_reserve_vcc 1
		.amdhsa_reserve_flat_scratch 0
		.amdhsa_float_round_mode_32 0
		.amdhsa_float_round_mode_16_64 0
		.amdhsa_float_denorm_mode_32 3
		.amdhsa_float_denorm_mode_16_64 3
		.amdhsa_dx10_clamp 1
		.amdhsa_ieee_mode 1
		.amdhsa_fp16_overflow 0
		.amdhsa_workgroup_processor_mode 1
		.amdhsa_memory_ordered 1
		.amdhsa_forward_progress 1
		.amdhsa_shared_vgpr_count 0
		.amdhsa_exception_fp_ieee_invalid_op 0
		.amdhsa_exception_fp_denorm_src 0
		.amdhsa_exception_fp_ieee_div_zero 0
		.amdhsa_exception_fp_ieee_overflow 0
		.amdhsa_exception_fp_ieee_underflow 0
		.amdhsa_exception_fp_ieee_inexact 0
		.amdhsa_exception_int_div_zero 0
	.end_amdhsa_kernel
	.section	.text._Z20warp_exchange_kernelILj128ELj4ELj64ELN6hipcub21WarpExchangeAlgorithmE0E18BlockedToStripedOpiEvPT4_,"axG",@progbits,_Z20warp_exchange_kernelILj128ELj4ELj64ELN6hipcub21WarpExchangeAlgorithmE0E18BlockedToStripedOpiEvPT4_,comdat
.Lfunc_end21:
	.size	_Z20warp_exchange_kernelILj128ELj4ELj64ELN6hipcub21WarpExchangeAlgorithmE0E18BlockedToStripedOpiEvPT4_, .Lfunc_end21-_Z20warp_exchange_kernelILj128ELj4ELj64ELN6hipcub21WarpExchangeAlgorithmE0E18BlockedToStripedOpiEvPT4_
                                        ; -- End function
	.set _Z20warp_exchange_kernelILj128ELj4ELj64ELN6hipcub21WarpExchangeAlgorithmE0E18BlockedToStripedOpiEvPT4_.num_vgpr, 8
	.set _Z20warp_exchange_kernelILj128ELj4ELj64ELN6hipcub21WarpExchangeAlgorithmE0E18BlockedToStripedOpiEvPT4_.num_agpr, 0
	.set _Z20warp_exchange_kernelILj128ELj4ELj64ELN6hipcub21WarpExchangeAlgorithmE0E18BlockedToStripedOpiEvPT4_.numbered_sgpr, 7
	.set _Z20warp_exchange_kernelILj128ELj4ELj64ELN6hipcub21WarpExchangeAlgorithmE0E18BlockedToStripedOpiEvPT4_.num_named_barrier, 0
	.set _Z20warp_exchange_kernelILj128ELj4ELj64ELN6hipcub21WarpExchangeAlgorithmE0E18BlockedToStripedOpiEvPT4_.private_seg_size, 0
	.set _Z20warp_exchange_kernelILj128ELj4ELj64ELN6hipcub21WarpExchangeAlgorithmE0E18BlockedToStripedOpiEvPT4_.uses_vcc, 1
	.set _Z20warp_exchange_kernelILj128ELj4ELj64ELN6hipcub21WarpExchangeAlgorithmE0E18BlockedToStripedOpiEvPT4_.uses_flat_scratch, 0
	.set _Z20warp_exchange_kernelILj128ELj4ELj64ELN6hipcub21WarpExchangeAlgorithmE0E18BlockedToStripedOpiEvPT4_.has_dyn_sized_stack, 0
	.set _Z20warp_exchange_kernelILj128ELj4ELj64ELN6hipcub21WarpExchangeAlgorithmE0E18BlockedToStripedOpiEvPT4_.has_recursion, 0
	.set _Z20warp_exchange_kernelILj128ELj4ELj64ELN6hipcub21WarpExchangeAlgorithmE0E18BlockedToStripedOpiEvPT4_.has_indirect_call, 0
	.section	.AMDGPU.csdata,"",@progbits
; Kernel info:
; codeLenInByte = 136
; TotalNumSgprs: 9
; NumVgprs: 8
; ScratchSize: 0
; MemoryBound: 0
; FloatMode: 240
; IeeeMode: 1
; LDSByteSize: 2048 bytes/workgroup (compile time only)
; SGPRBlocks: 0
; VGPRBlocks: 0
; NumSGPRsForWavesPerEU: 9
; NumVGPRsForWavesPerEU: 8
; Occupancy: 16
; WaveLimiterHint : 0
; COMPUTE_PGM_RSRC2:SCRATCH_EN: 0
; COMPUTE_PGM_RSRC2:USER_SGPR: 6
; COMPUTE_PGM_RSRC2:TRAP_HANDLER: 0
; COMPUTE_PGM_RSRC2:TGID_X_EN: 1
; COMPUTE_PGM_RSRC2:TGID_Y_EN: 0
; COMPUTE_PGM_RSRC2:TGID_Z_EN: 0
; COMPUTE_PGM_RSRC2:TIDIG_COMP_CNT: 0
	.section	.text._Z20warp_exchange_kernelILj128ELj4ELj64ELN6hipcub21WarpExchangeAlgorithmE1E18BlockedToStripedOpiEvPT4_,"axG",@progbits,_Z20warp_exchange_kernelILj128ELj4ELj64ELN6hipcub21WarpExchangeAlgorithmE1E18BlockedToStripedOpiEvPT4_,comdat
	.protected	_Z20warp_exchange_kernelILj128ELj4ELj64ELN6hipcub21WarpExchangeAlgorithmE1E18BlockedToStripedOpiEvPT4_ ; -- Begin function _Z20warp_exchange_kernelILj128ELj4ELj64ELN6hipcub21WarpExchangeAlgorithmE1E18BlockedToStripedOpiEvPT4_
	.globl	_Z20warp_exchange_kernelILj128ELj4ELj64ELN6hipcub21WarpExchangeAlgorithmE1E18BlockedToStripedOpiEvPT4_
	.p2align	8
	.type	_Z20warp_exchange_kernelILj128ELj4ELj64ELN6hipcub21WarpExchangeAlgorithmE1E18BlockedToStripedOpiEvPT4_,@function
_Z20warp_exchange_kernelILj128ELj4ELj64ELN6hipcub21WarpExchangeAlgorithmE1E18BlockedToStripedOpiEvPT4_: ; @_Z20warp_exchange_kernelILj128ELj4ELj64ELN6hipcub21WarpExchangeAlgorithmE1E18BlockedToStripedOpiEvPT4_
; %bb.0:
	v_mbcnt_lo_u32_b32 v1, -1, 0
	s_load_dwordx2 s[0:1], s[4:5], 0x0
	v_lshlrev_b32_e32 v0, 2, v0
	v_mov_b32_e32 v2, 0
	v_and_b32_e32 v3, 3, v1
	v_cmp_eq_u32_e32 vcc_lo, 1, v3
	v_cndmask_b32_e64 v1, 0, 1, vcc_lo
	v_cmp_ne_u32_e32 vcc_lo, 2, v3
	v_cndmask_b32_e32 v4, 2, v1, vcc_lo
	v_lshl_or_b32 v1, s6, 9, v0
	v_cmp_ne_u32_e32 vcc_lo, 3, v3
	v_cndmask_b32_e32 v0, 3, v4, vcc_lo
	v_lshlrev_b64 v[4:5], 2, v[1:2]
	v_mov_b32_e32 v1, v0
	v_mov_b32_e32 v2, v0
	s_waitcnt lgkmcnt(0)
	v_add_co_u32 v4, vcc_lo, s0, v4
	v_mov_b32_e32 v3, v0
	v_add_co_ci_u32_e64 v5, null, s1, v5, vcc_lo
	global_store_dwordx4 v[4:5], v[0:3], off
	s_endpgm
	.section	.rodata,"a",@progbits
	.p2align	6, 0x0
	.amdhsa_kernel _Z20warp_exchange_kernelILj128ELj4ELj64ELN6hipcub21WarpExchangeAlgorithmE1E18BlockedToStripedOpiEvPT4_
		.amdhsa_group_segment_fixed_size 0
		.amdhsa_private_segment_fixed_size 0
		.amdhsa_kernarg_size 8
		.amdhsa_user_sgpr_count 6
		.amdhsa_user_sgpr_private_segment_buffer 1
		.amdhsa_user_sgpr_dispatch_ptr 0
		.amdhsa_user_sgpr_queue_ptr 0
		.amdhsa_user_sgpr_kernarg_segment_ptr 1
		.amdhsa_user_sgpr_dispatch_id 0
		.amdhsa_user_sgpr_flat_scratch_init 0
		.amdhsa_user_sgpr_private_segment_size 0
		.amdhsa_wavefront_size32 1
		.amdhsa_uses_dynamic_stack 0
		.amdhsa_system_sgpr_private_segment_wavefront_offset 0
		.amdhsa_system_sgpr_workgroup_id_x 1
		.amdhsa_system_sgpr_workgroup_id_y 0
		.amdhsa_system_sgpr_workgroup_id_z 0
		.amdhsa_system_sgpr_workgroup_info 0
		.amdhsa_system_vgpr_workitem_id 0
		.amdhsa_next_free_vgpr 6
		.amdhsa_next_free_sgpr 7
		.amdhsa_reserve_vcc 1
		.amdhsa_reserve_flat_scratch 0
		.amdhsa_float_round_mode_32 0
		.amdhsa_float_round_mode_16_64 0
		.amdhsa_float_denorm_mode_32 3
		.amdhsa_float_denorm_mode_16_64 3
		.amdhsa_dx10_clamp 1
		.amdhsa_ieee_mode 1
		.amdhsa_fp16_overflow 0
		.amdhsa_workgroup_processor_mode 1
		.amdhsa_memory_ordered 1
		.amdhsa_forward_progress 1
		.amdhsa_shared_vgpr_count 0
		.amdhsa_exception_fp_ieee_invalid_op 0
		.amdhsa_exception_fp_denorm_src 0
		.amdhsa_exception_fp_ieee_div_zero 0
		.amdhsa_exception_fp_ieee_overflow 0
		.amdhsa_exception_fp_ieee_underflow 0
		.amdhsa_exception_fp_ieee_inexact 0
		.amdhsa_exception_int_div_zero 0
	.end_amdhsa_kernel
	.section	.text._Z20warp_exchange_kernelILj128ELj4ELj64ELN6hipcub21WarpExchangeAlgorithmE1E18BlockedToStripedOpiEvPT4_,"axG",@progbits,_Z20warp_exchange_kernelILj128ELj4ELj64ELN6hipcub21WarpExchangeAlgorithmE1E18BlockedToStripedOpiEvPT4_,comdat
.Lfunc_end22:
	.size	_Z20warp_exchange_kernelILj128ELj4ELj64ELN6hipcub21WarpExchangeAlgorithmE1E18BlockedToStripedOpiEvPT4_, .Lfunc_end22-_Z20warp_exchange_kernelILj128ELj4ELj64ELN6hipcub21WarpExchangeAlgorithmE1E18BlockedToStripedOpiEvPT4_
                                        ; -- End function
	.set _Z20warp_exchange_kernelILj128ELj4ELj64ELN6hipcub21WarpExchangeAlgorithmE1E18BlockedToStripedOpiEvPT4_.num_vgpr, 6
	.set _Z20warp_exchange_kernelILj128ELj4ELj64ELN6hipcub21WarpExchangeAlgorithmE1E18BlockedToStripedOpiEvPT4_.num_agpr, 0
	.set _Z20warp_exchange_kernelILj128ELj4ELj64ELN6hipcub21WarpExchangeAlgorithmE1E18BlockedToStripedOpiEvPT4_.numbered_sgpr, 7
	.set _Z20warp_exchange_kernelILj128ELj4ELj64ELN6hipcub21WarpExchangeAlgorithmE1E18BlockedToStripedOpiEvPT4_.num_named_barrier, 0
	.set _Z20warp_exchange_kernelILj128ELj4ELj64ELN6hipcub21WarpExchangeAlgorithmE1E18BlockedToStripedOpiEvPT4_.private_seg_size, 0
	.set _Z20warp_exchange_kernelILj128ELj4ELj64ELN6hipcub21WarpExchangeAlgorithmE1E18BlockedToStripedOpiEvPT4_.uses_vcc, 1
	.set _Z20warp_exchange_kernelILj128ELj4ELj64ELN6hipcub21WarpExchangeAlgorithmE1E18BlockedToStripedOpiEvPT4_.uses_flat_scratch, 0
	.set _Z20warp_exchange_kernelILj128ELj4ELj64ELN6hipcub21WarpExchangeAlgorithmE1E18BlockedToStripedOpiEvPT4_.has_dyn_sized_stack, 0
	.set _Z20warp_exchange_kernelILj128ELj4ELj64ELN6hipcub21WarpExchangeAlgorithmE1E18BlockedToStripedOpiEvPT4_.has_recursion, 0
	.set _Z20warp_exchange_kernelILj128ELj4ELj64ELN6hipcub21WarpExchangeAlgorithmE1E18BlockedToStripedOpiEvPT4_.has_indirect_call, 0
	.section	.AMDGPU.csdata,"",@progbits
; Kernel info:
; codeLenInByte = 116
; TotalNumSgprs: 9
; NumVgprs: 6
; ScratchSize: 0
; MemoryBound: 0
; FloatMode: 240
; IeeeMode: 1
; LDSByteSize: 0 bytes/workgroup (compile time only)
; SGPRBlocks: 0
; VGPRBlocks: 0
; NumSGPRsForWavesPerEU: 9
; NumVGPRsForWavesPerEU: 6
; Occupancy: 16
; WaveLimiterHint : 0
; COMPUTE_PGM_RSRC2:SCRATCH_EN: 0
; COMPUTE_PGM_RSRC2:USER_SGPR: 6
; COMPUTE_PGM_RSRC2:TRAP_HANDLER: 0
; COMPUTE_PGM_RSRC2:TGID_X_EN: 1
; COMPUTE_PGM_RSRC2:TGID_Y_EN: 0
; COMPUTE_PGM_RSRC2:TGID_Z_EN: 0
; COMPUTE_PGM_RSRC2:TIDIG_COMP_CNT: 0
	.section	.text._Z39warp_exchange_scatter_to_striped_kernelIiLj128ELj4ELj64EiEvPT3_,"axG",@progbits,_Z39warp_exchange_scatter_to_striped_kernelIiLj128ELj4ELj64EiEvPT3_,comdat
	.protected	_Z39warp_exchange_scatter_to_striped_kernelIiLj128ELj4ELj64EiEvPT3_ ; -- Begin function _Z39warp_exchange_scatter_to_striped_kernelIiLj128ELj4ELj64EiEvPT3_
	.globl	_Z39warp_exchange_scatter_to_striped_kernelIiLj128ELj4ELj64EiEvPT3_
	.p2align	8
	.type	_Z39warp_exchange_scatter_to_striped_kernelIiLj128ELj4ELj64EiEvPT3_,@function
_Z39warp_exchange_scatter_to_striped_kernelIiLj128ELj4ELj64EiEvPT3_: ; @_Z39warp_exchange_scatter_to_striped_kernelIiLj128ELj4ELj64EiEvPT3_
; %bb.0:
	v_lshrrev_b32_e32 v3, 6, v0
	s_load_dwordx2 s[0:1], s[4:5], 0x0
	v_lshl_or_b32 v4, s6, 9, v0
	v_mbcnt_lo_u32_b32 v0, -1, 0
	v_mov_b32_e32 v5, 0
	v_lshlrev_b32_e32 v6, 4, v3
	v_lshlrev_b32_e32 v10, 10, v3
	v_mov_b32_e32 v1, 3
	v_mov_b32_e32 v2, 2
	v_mov_b32_e32 v3, 1
	v_xor_b32_e32 v8, 0xf0, v6
	v_sub_nc_u32_e32 v12, v10, v6
	v_mov_b32_e32 v7, v5
	v_or_b32_e32 v6, 0x80, v4
	v_or_b32_e32 v11, v10, v8
	v_lshl_or_b32 v10, v0, 2, v10
	v_lshlrev_b64 v[8:9], 2, v[4:5]
	v_lshlrev_b64 v[6:7], 2, v[6:7]
	ds_write_b32 v11, v5 offset:12
	ds_write_b96 v12, v[1:3] offset:240
	; wave barrier
	ds_read2st64_b32 v[0:1], v10 offset1:1
	ds_read2st64_b32 v[2:3], v10 offset0:2 offset1:3
	v_or_b32_e32 v10, 0x100, v4
	v_mov_b32_e32 v11, v5
	v_or_b32_e32 v4, 0x180, v4
	s_waitcnt lgkmcnt(0)
	v_add_co_u32 v8, vcc_lo, s0, v8
	v_add_co_ci_u32_e64 v9, null, s1, v9, vcc_lo
	v_lshlrev_b64 v[10:11], 2, v[10:11]
	v_lshlrev_b64 v[4:5], 2, v[4:5]
	v_add_co_u32 v6, vcc_lo, s0, v6
	v_add_co_ci_u32_e64 v7, null, s1, v7, vcc_lo
	v_add_co_u32 v10, vcc_lo, s0, v10
	v_add_co_ci_u32_e64 v11, null, s1, v11, vcc_lo
	;; [unrolled: 2-line block ×3, first 2 shown]
	global_store_dword v[8:9], v0, off
	global_store_dword v[6:7], v1, off
	;; [unrolled: 1-line block ×4, first 2 shown]
	s_endpgm
	.section	.rodata,"a",@progbits
	.p2align	6, 0x0
	.amdhsa_kernel _Z39warp_exchange_scatter_to_striped_kernelIiLj128ELj4ELj64EiEvPT3_
		.amdhsa_group_segment_fixed_size 2048
		.amdhsa_private_segment_fixed_size 0
		.amdhsa_kernarg_size 8
		.amdhsa_user_sgpr_count 6
		.amdhsa_user_sgpr_private_segment_buffer 1
		.amdhsa_user_sgpr_dispatch_ptr 0
		.amdhsa_user_sgpr_queue_ptr 0
		.amdhsa_user_sgpr_kernarg_segment_ptr 1
		.amdhsa_user_sgpr_dispatch_id 0
		.amdhsa_user_sgpr_flat_scratch_init 0
		.amdhsa_user_sgpr_private_segment_size 0
		.amdhsa_wavefront_size32 1
		.amdhsa_uses_dynamic_stack 0
		.amdhsa_system_sgpr_private_segment_wavefront_offset 0
		.amdhsa_system_sgpr_workgroup_id_x 1
		.amdhsa_system_sgpr_workgroup_id_y 0
		.amdhsa_system_sgpr_workgroup_id_z 0
		.amdhsa_system_sgpr_workgroup_info 0
		.amdhsa_system_vgpr_workitem_id 0
		.amdhsa_next_free_vgpr 13
		.amdhsa_next_free_sgpr 7
		.amdhsa_reserve_vcc 1
		.amdhsa_reserve_flat_scratch 0
		.amdhsa_float_round_mode_32 0
		.amdhsa_float_round_mode_16_64 0
		.amdhsa_float_denorm_mode_32 3
		.amdhsa_float_denorm_mode_16_64 3
		.amdhsa_dx10_clamp 1
		.amdhsa_ieee_mode 1
		.amdhsa_fp16_overflow 0
		.amdhsa_workgroup_processor_mode 1
		.amdhsa_memory_ordered 1
		.amdhsa_forward_progress 1
		.amdhsa_shared_vgpr_count 0
		.amdhsa_exception_fp_ieee_invalid_op 0
		.amdhsa_exception_fp_denorm_src 0
		.amdhsa_exception_fp_ieee_div_zero 0
		.amdhsa_exception_fp_ieee_overflow 0
		.amdhsa_exception_fp_ieee_underflow 0
		.amdhsa_exception_fp_ieee_inexact 0
		.amdhsa_exception_int_div_zero 0
	.end_amdhsa_kernel
	.section	.text._Z39warp_exchange_scatter_to_striped_kernelIiLj128ELj4ELj64EiEvPT3_,"axG",@progbits,_Z39warp_exchange_scatter_to_striped_kernelIiLj128ELj4ELj64EiEvPT3_,comdat
.Lfunc_end23:
	.size	_Z39warp_exchange_scatter_to_striped_kernelIiLj128ELj4ELj64EiEvPT3_, .Lfunc_end23-_Z39warp_exchange_scatter_to_striped_kernelIiLj128ELj4ELj64EiEvPT3_
                                        ; -- End function
	.set _Z39warp_exchange_scatter_to_striped_kernelIiLj128ELj4ELj64EiEvPT3_.num_vgpr, 13
	.set _Z39warp_exchange_scatter_to_striped_kernelIiLj128ELj4ELj64EiEvPT3_.num_agpr, 0
	.set _Z39warp_exchange_scatter_to_striped_kernelIiLj128ELj4ELj64EiEvPT3_.numbered_sgpr, 7
	.set _Z39warp_exchange_scatter_to_striped_kernelIiLj128ELj4ELj64EiEvPT3_.num_named_barrier, 0
	.set _Z39warp_exchange_scatter_to_striped_kernelIiLj128ELj4ELj64EiEvPT3_.private_seg_size, 0
	.set _Z39warp_exchange_scatter_to_striped_kernelIiLj128ELj4ELj64EiEvPT3_.uses_vcc, 1
	.set _Z39warp_exchange_scatter_to_striped_kernelIiLj128ELj4ELj64EiEvPT3_.uses_flat_scratch, 0
	.set _Z39warp_exchange_scatter_to_striped_kernelIiLj128ELj4ELj64EiEvPT3_.has_dyn_sized_stack, 0
	.set _Z39warp_exchange_scatter_to_striped_kernelIiLj128ELj4ELj64EiEvPT3_.has_recursion, 0
	.set _Z39warp_exchange_scatter_to_striped_kernelIiLj128ELj4ELj64EiEvPT3_.has_indirect_call, 0
	.section	.AMDGPU.csdata,"",@progbits
; Kernel info:
; codeLenInByte = 276
; TotalNumSgprs: 9
; NumVgprs: 13
; ScratchSize: 0
; MemoryBound: 0
; FloatMode: 240
; IeeeMode: 1
; LDSByteSize: 2048 bytes/workgroup (compile time only)
; SGPRBlocks: 0
; VGPRBlocks: 1
; NumSGPRsForWavesPerEU: 9
; NumVGPRsForWavesPerEU: 13
; Occupancy: 16
; WaveLimiterHint : 0
; COMPUTE_PGM_RSRC2:SCRATCH_EN: 0
; COMPUTE_PGM_RSRC2:USER_SGPR: 6
; COMPUTE_PGM_RSRC2:TRAP_HANDLER: 0
; COMPUTE_PGM_RSRC2:TGID_X_EN: 1
; COMPUTE_PGM_RSRC2:TGID_Y_EN: 0
; COMPUTE_PGM_RSRC2:TGID_Z_EN: 0
; COMPUTE_PGM_RSRC2:TIDIG_COMP_CNT: 0
	.section	.text._Z20warp_exchange_kernelILj256ELj4ELj64ELN6hipcub21WarpExchangeAlgorithmE0E18StripedToBlockedOpiEvPT4_,"axG",@progbits,_Z20warp_exchange_kernelILj256ELj4ELj64ELN6hipcub21WarpExchangeAlgorithmE0E18StripedToBlockedOpiEvPT4_,comdat
	.protected	_Z20warp_exchange_kernelILj256ELj4ELj64ELN6hipcub21WarpExchangeAlgorithmE0E18StripedToBlockedOpiEvPT4_ ; -- Begin function _Z20warp_exchange_kernelILj256ELj4ELj64ELN6hipcub21WarpExchangeAlgorithmE0E18StripedToBlockedOpiEvPT4_
	.globl	_Z20warp_exchange_kernelILj256ELj4ELj64ELN6hipcub21WarpExchangeAlgorithmE0E18StripedToBlockedOpiEvPT4_
	.p2align	8
	.type	_Z20warp_exchange_kernelILj256ELj4ELj64ELN6hipcub21WarpExchangeAlgorithmE0E18StripedToBlockedOpiEvPT4_,@function
_Z20warp_exchange_kernelILj256ELj4ELj64ELN6hipcub21WarpExchangeAlgorithmE0E18StripedToBlockedOpiEvPT4_: ; @_Z20warp_exchange_kernelILj256ELj4ELj64ELN6hipcub21WarpExchangeAlgorithmE0E18StripedToBlockedOpiEvPT4_
; %bb.0:
	v_lshlrev_b32_e32 v1, 4, v0
	v_mbcnt_lo_u32_b32 v2, -1, 0
	s_load_dwordx2 s[0:1], s[4:5], 0x0
	v_mov_b32_e32 v5, 0
	v_mov_b32_e32 v4, 1
	v_and_b32_e32 v1, 0xc00, v1
	v_lshlrev_b32_e32 v8, 2, v0
	v_mov_b32_e32 v3, 2
	v_mov_b32_e32 v7, 3
	v_lshl_or_b32 v6, v2, 2, v1
	v_lshl_or_b32 v0, v2, 4, v1
	ds_write2st64_b32 v6, v5, v4 offset1:1
	ds_write2st64_b32 v6, v3, v7 offset0:2 offset1:3
	; wave barrier
	ds_read_b128 v[0:3], v0
	v_lshl_or_b32 v4, s6, 10, v8
	v_lshlrev_b64 v[4:5], 2, v[4:5]
	s_waitcnt lgkmcnt(0)
	v_add_co_u32 v4, vcc_lo, s0, v4
	v_add_co_ci_u32_e64 v5, null, s1, v5, vcc_lo
	global_store_dwordx4 v[4:5], v[0:3], off
	s_endpgm
	.section	.rodata,"a",@progbits
	.p2align	6, 0x0
	.amdhsa_kernel _Z20warp_exchange_kernelILj256ELj4ELj64ELN6hipcub21WarpExchangeAlgorithmE0E18StripedToBlockedOpiEvPT4_
		.amdhsa_group_segment_fixed_size 4096
		.amdhsa_private_segment_fixed_size 0
		.amdhsa_kernarg_size 8
		.amdhsa_user_sgpr_count 6
		.amdhsa_user_sgpr_private_segment_buffer 1
		.amdhsa_user_sgpr_dispatch_ptr 0
		.amdhsa_user_sgpr_queue_ptr 0
		.amdhsa_user_sgpr_kernarg_segment_ptr 1
		.amdhsa_user_sgpr_dispatch_id 0
		.amdhsa_user_sgpr_flat_scratch_init 0
		.amdhsa_user_sgpr_private_segment_size 0
		.amdhsa_wavefront_size32 1
		.amdhsa_uses_dynamic_stack 0
		.amdhsa_system_sgpr_private_segment_wavefront_offset 0
		.amdhsa_system_sgpr_workgroup_id_x 1
		.amdhsa_system_sgpr_workgroup_id_y 0
		.amdhsa_system_sgpr_workgroup_id_z 0
		.amdhsa_system_sgpr_workgroup_info 0
		.amdhsa_system_vgpr_workitem_id 0
		.amdhsa_next_free_vgpr 9
		.amdhsa_next_free_sgpr 7
		.amdhsa_reserve_vcc 1
		.amdhsa_reserve_flat_scratch 0
		.amdhsa_float_round_mode_32 0
		.amdhsa_float_round_mode_16_64 0
		.amdhsa_float_denorm_mode_32 3
		.amdhsa_float_denorm_mode_16_64 3
		.amdhsa_dx10_clamp 1
		.amdhsa_ieee_mode 1
		.amdhsa_fp16_overflow 0
		.amdhsa_workgroup_processor_mode 1
		.amdhsa_memory_ordered 1
		.amdhsa_forward_progress 1
		.amdhsa_shared_vgpr_count 0
		.amdhsa_exception_fp_ieee_invalid_op 0
		.amdhsa_exception_fp_denorm_src 0
		.amdhsa_exception_fp_ieee_div_zero 0
		.amdhsa_exception_fp_ieee_overflow 0
		.amdhsa_exception_fp_ieee_underflow 0
		.amdhsa_exception_fp_ieee_inexact 0
		.amdhsa_exception_int_div_zero 0
	.end_amdhsa_kernel
	.section	.text._Z20warp_exchange_kernelILj256ELj4ELj64ELN6hipcub21WarpExchangeAlgorithmE0E18StripedToBlockedOpiEvPT4_,"axG",@progbits,_Z20warp_exchange_kernelILj256ELj4ELj64ELN6hipcub21WarpExchangeAlgorithmE0E18StripedToBlockedOpiEvPT4_,comdat
.Lfunc_end24:
	.size	_Z20warp_exchange_kernelILj256ELj4ELj64ELN6hipcub21WarpExchangeAlgorithmE0E18StripedToBlockedOpiEvPT4_, .Lfunc_end24-_Z20warp_exchange_kernelILj256ELj4ELj64ELN6hipcub21WarpExchangeAlgorithmE0E18StripedToBlockedOpiEvPT4_
                                        ; -- End function
	.set _Z20warp_exchange_kernelILj256ELj4ELj64ELN6hipcub21WarpExchangeAlgorithmE0E18StripedToBlockedOpiEvPT4_.num_vgpr, 9
	.set _Z20warp_exchange_kernelILj256ELj4ELj64ELN6hipcub21WarpExchangeAlgorithmE0E18StripedToBlockedOpiEvPT4_.num_agpr, 0
	.set _Z20warp_exchange_kernelILj256ELj4ELj64ELN6hipcub21WarpExchangeAlgorithmE0E18StripedToBlockedOpiEvPT4_.numbered_sgpr, 7
	.set _Z20warp_exchange_kernelILj256ELj4ELj64ELN6hipcub21WarpExchangeAlgorithmE0E18StripedToBlockedOpiEvPT4_.num_named_barrier, 0
	.set _Z20warp_exchange_kernelILj256ELj4ELj64ELN6hipcub21WarpExchangeAlgorithmE0E18StripedToBlockedOpiEvPT4_.private_seg_size, 0
	.set _Z20warp_exchange_kernelILj256ELj4ELj64ELN6hipcub21WarpExchangeAlgorithmE0E18StripedToBlockedOpiEvPT4_.uses_vcc, 1
	.set _Z20warp_exchange_kernelILj256ELj4ELj64ELN6hipcub21WarpExchangeAlgorithmE0E18StripedToBlockedOpiEvPT4_.uses_flat_scratch, 0
	.set _Z20warp_exchange_kernelILj256ELj4ELj64ELN6hipcub21WarpExchangeAlgorithmE0E18StripedToBlockedOpiEvPT4_.has_dyn_sized_stack, 0
	.set _Z20warp_exchange_kernelILj256ELj4ELj64ELN6hipcub21WarpExchangeAlgorithmE0E18StripedToBlockedOpiEvPT4_.has_recursion, 0
	.set _Z20warp_exchange_kernelILj256ELj4ELj64ELN6hipcub21WarpExchangeAlgorithmE0E18StripedToBlockedOpiEvPT4_.has_indirect_call, 0
	.section	.AMDGPU.csdata,"",@progbits
; Kernel info:
; codeLenInByte = 136
; TotalNumSgprs: 9
; NumVgprs: 9
; ScratchSize: 0
; MemoryBound: 0
; FloatMode: 240
; IeeeMode: 1
; LDSByteSize: 4096 bytes/workgroup (compile time only)
; SGPRBlocks: 0
; VGPRBlocks: 1
; NumSGPRsForWavesPerEU: 9
; NumVGPRsForWavesPerEU: 9
; Occupancy: 16
; WaveLimiterHint : 0
; COMPUTE_PGM_RSRC2:SCRATCH_EN: 0
; COMPUTE_PGM_RSRC2:USER_SGPR: 6
; COMPUTE_PGM_RSRC2:TRAP_HANDLER: 0
; COMPUTE_PGM_RSRC2:TGID_X_EN: 1
; COMPUTE_PGM_RSRC2:TGID_Y_EN: 0
; COMPUTE_PGM_RSRC2:TGID_Z_EN: 0
; COMPUTE_PGM_RSRC2:TIDIG_COMP_CNT: 0
	.section	.text._Z20warp_exchange_kernelILj256ELj4ELj64ELN6hipcub21WarpExchangeAlgorithmE1E18StripedToBlockedOpiEvPT4_,"axG",@progbits,_Z20warp_exchange_kernelILj256ELj4ELj64ELN6hipcub21WarpExchangeAlgorithmE1E18StripedToBlockedOpiEvPT4_,comdat
	.protected	_Z20warp_exchange_kernelILj256ELj4ELj64ELN6hipcub21WarpExchangeAlgorithmE1E18StripedToBlockedOpiEvPT4_ ; -- Begin function _Z20warp_exchange_kernelILj256ELj4ELj64ELN6hipcub21WarpExchangeAlgorithmE1E18StripedToBlockedOpiEvPT4_
	.globl	_Z20warp_exchange_kernelILj256ELj4ELj64ELN6hipcub21WarpExchangeAlgorithmE1E18StripedToBlockedOpiEvPT4_
	.p2align	8
	.type	_Z20warp_exchange_kernelILj256ELj4ELj64ELN6hipcub21WarpExchangeAlgorithmE1E18StripedToBlockedOpiEvPT4_,@function
_Z20warp_exchange_kernelILj256ELj4ELj64ELN6hipcub21WarpExchangeAlgorithmE1E18StripedToBlockedOpiEvPT4_: ; @_Z20warp_exchange_kernelILj256ELj4ELj64ELN6hipcub21WarpExchangeAlgorithmE1E18StripedToBlockedOpiEvPT4_
; %bb.0:
	v_mbcnt_lo_u32_b32 v1, -1, 0
	s_load_dwordx2 s[0:1], s[4:5], 0x0
	v_lshlrev_b32_e32 v0, 2, v0
	v_mov_b32_e32 v2, 0
	v_lshrrev_b32_e32 v3, 4, v1
	v_cmp_eq_u32_e32 vcc_lo, 1, v3
	v_cndmask_b32_e64 v1, 0, 1, vcc_lo
	v_cmp_ne_u32_e32 vcc_lo, 2, v3
	v_cndmask_b32_e32 v4, 2, v1, vcc_lo
	v_lshl_or_b32 v1, s6, 10, v0
	v_cmp_ne_u32_e32 vcc_lo, 3, v3
	v_cndmask_b32_e32 v0, 3, v4, vcc_lo
	v_lshlrev_b64 v[4:5], 2, v[1:2]
	v_mov_b32_e32 v1, v0
	v_mov_b32_e32 v2, v0
	s_waitcnt lgkmcnt(0)
	v_add_co_u32 v4, vcc_lo, s0, v4
	v_mov_b32_e32 v3, v0
	v_add_co_ci_u32_e64 v5, null, s1, v5, vcc_lo
	global_store_dwordx4 v[4:5], v[0:3], off
	s_endpgm
	.section	.rodata,"a",@progbits
	.p2align	6, 0x0
	.amdhsa_kernel _Z20warp_exchange_kernelILj256ELj4ELj64ELN6hipcub21WarpExchangeAlgorithmE1E18StripedToBlockedOpiEvPT4_
		.amdhsa_group_segment_fixed_size 0
		.amdhsa_private_segment_fixed_size 0
		.amdhsa_kernarg_size 8
		.amdhsa_user_sgpr_count 6
		.amdhsa_user_sgpr_private_segment_buffer 1
		.amdhsa_user_sgpr_dispatch_ptr 0
		.amdhsa_user_sgpr_queue_ptr 0
		.amdhsa_user_sgpr_kernarg_segment_ptr 1
		.amdhsa_user_sgpr_dispatch_id 0
		.amdhsa_user_sgpr_flat_scratch_init 0
		.amdhsa_user_sgpr_private_segment_size 0
		.amdhsa_wavefront_size32 1
		.amdhsa_uses_dynamic_stack 0
		.amdhsa_system_sgpr_private_segment_wavefront_offset 0
		.amdhsa_system_sgpr_workgroup_id_x 1
		.amdhsa_system_sgpr_workgroup_id_y 0
		.amdhsa_system_sgpr_workgroup_id_z 0
		.amdhsa_system_sgpr_workgroup_info 0
		.amdhsa_system_vgpr_workitem_id 0
		.amdhsa_next_free_vgpr 6
		.amdhsa_next_free_sgpr 7
		.amdhsa_reserve_vcc 1
		.amdhsa_reserve_flat_scratch 0
		.amdhsa_float_round_mode_32 0
		.amdhsa_float_round_mode_16_64 0
		.amdhsa_float_denorm_mode_32 3
		.amdhsa_float_denorm_mode_16_64 3
		.amdhsa_dx10_clamp 1
		.amdhsa_ieee_mode 1
		.amdhsa_fp16_overflow 0
		.amdhsa_workgroup_processor_mode 1
		.amdhsa_memory_ordered 1
		.amdhsa_forward_progress 1
		.amdhsa_shared_vgpr_count 0
		.amdhsa_exception_fp_ieee_invalid_op 0
		.amdhsa_exception_fp_denorm_src 0
		.amdhsa_exception_fp_ieee_div_zero 0
		.amdhsa_exception_fp_ieee_overflow 0
		.amdhsa_exception_fp_ieee_underflow 0
		.amdhsa_exception_fp_ieee_inexact 0
		.amdhsa_exception_int_div_zero 0
	.end_amdhsa_kernel
	.section	.text._Z20warp_exchange_kernelILj256ELj4ELj64ELN6hipcub21WarpExchangeAlgorithmE1E18StripedToBlockedOpiEvPT4_,"axG",@progbits,_Z20warp_exchange_kernelILj256ELj4ELj64ELN6hipcub21WarpExchangeAlgorithmE1E18StripedToBlockedOpiEvPT4_,comdat
.Lfunc_end25:
	.size	_Z20warp_exchange_kernelILj256ELj4ELj64ELN6hipcub21WarpExchangeAlgorithmE1E18StripedToBlockedOpiEvPT4_, .Lfunc_end25-_Z20warp_exchange_kernelILj256ELj4ELj64ELN6hipcub21WarpExchangeAlgorithmE1E18StripedToBlockedOpiEvPT4_
                                        ; -- End function
	.set _Z20warp_exchange_kernelILj256ELj4ELj64ELN6hipcub21WarpExchangeAlgorithmE1E18StripedToBlockedOpiEvPT4_.num_vgpr, 6
	.set _Z20warp_exchange_kernelILj256ELj4ELj64ELN6hipcub21WarpExchangeAlgorithmE1E18StripedToBlockedOpiEvPT4_.num_agpr, 0
	.set _Z20warp_exchange_kernelILj256ELj4ELj64ELN6hipcub21WarpExchangeAlgorithmE1E18StripedToBlockedOpiEvPT4_.numbered_sgpr, 7
	.set _Z20warp_exchange_kernelILj256ELj4ELj64ELN6hipcub21WarpExchangeAlgorithmE1E18StripedToBlockedOpiEvPT4_.num_named_barrier, 0
	.set _Z20warp_exchange_kernelILj256ELj4ELj64ELN6hipcub21WarpExchangeAlgorithmE1E18StripedToBlockedOpiEvPT4_.private_seg_size, 0
	.set _Z20warp_exchange_kernelILj256ELj4ELj64ELN6hipcub21WarpExchangeAlgorithmE1E18StripedToBlockedOpiEvPT4_.uses_vcc, 1
	.set _Z20warp_exchange_kernelILj256ELj4ELj64ELN6hipcub21WarpExchangeAlgorithmE1E18StripedToBlockedOpiEvPT4_.uses_flat_scratch, 0
	.set _Z20warp_exchange_kernelILj256ELj4ELj64ELN6hipcub21WarpExchangeAlgorithmE1E18StripedToBlockedOpiEvPT4_.has_dyn_sized_stack, 0
	.set _Z20warp_exchange_kernelILj256ELj4ELj64ELN6hipcub21WarpExchangeAlgorithmE1E18StripedToBlockedOpiEvPT4_.has_recursion, 0
	.set _Z20warp_exchange_kernelILj256ELj4ELj64ELN6hipcub21WarpExchangeAlgorithmE1E18StripedToBlockedOpiEvPT4_.has_indirect_call, 0
	.section	.AMDGPU.csdata,"",@progbits
; Kernel info:
; codeLenInByte = 116
; TotalNumSgprs: 9
; NumVgprs: 6
; ScratchSize: 0
; MemoryBound: 0
; FloatMode: 240
; IeeeMode: 1
; LDSByteSize: 0 bytes/workgroup (compile time only)
; SGPRBlocks: 0
; VGPRBlocks: 0
; NumSGPRsForWavesPerEU: 9
; NumVGPRsForWavesPerEU: 6
; Occupancy: 16
; WaveLimiterHint : 0
; COMPUTE_PGM_RSRC2:SCRATCH_EN: 0
; COMPUTE_PGM_RSRC2:USER_SGPR: 6
; COMPUTE_PGM_RSRC2:TRAP_HANDLER: 0
; COMPUTE_PGM_RSRC2:TGID_X_EN: 1
; COMPUTE_PGM_RSRC2:TGID_Y_EN: 0
; COMPUTE_PGM_RSRC2:TGID_Z_EN: 0
; COMPUTE_PGM_RSRC2:TIDIG_COMP_CNT: 0
	.section	.text._Z20warp_exchange_kernelILj256ELj4ELj64ELN6hipcub21WarpExchangeAlgorithmE0E18BlockedToStripedOpiEvPT4_,"axG",@progbits,_Z20warp_exchange_kernelILj256ELj4ELj64ELN6hipcub21WarpExchangeAlgorithmE0E18BlockedToStripedOpiEvPT4_,comdat
	.protected	_Z20warp_exchange_kernelILj256ELj4ELj64ELN6hipcub21WarpExchangeAlgorithmE0E18BlockedToStripedOpiEvPT4_ ; -- Begin function _Z20warp_exchange_kernelILj256ELj4ELj64ELN6hipcub21WarpExchangeAlgorithmE0E18BlockedToStripedOpiEvPT4_
	.globl	_Z20warp_exchange_kernelILj256ELj4ELj64ELN6hipcub21WarpExchangeAlgorithmE0E18BlockedToStripedOpiEvPT4_
	.p2align	8
	.type	_Z20warp_exchange_kernelILj256ELj4ELj64ELN6hipcub21WarpExchangeAlgorithmE0E18BlockedToStripedOpiEvPT4_,@function
_Z20warp_exchange_kernelILj256ELj4ELj64ELN6hipcub21WarpExchangeAlgorithmE0E18BlockedToStripedOpiEvPT4_: ; @_Z20warp_exchange_kernelILj256ELj4ELj64ELN6hipcub21WarpExchangeAlgorithmE0E18BlockedToStripedOpiEvPT4_
; %bb.0:
	v_lshlrev_b32_e32 v1, 4, v0
	v_mbcnt_lo_u32_b32 v5, -1, 0
	s_load_dwordx2 s[0:1], s[4:5], 0x0
	v_mov_b32_e32 v2, 1
	v_mov_b32_e32 v3, 2
	v_and_b32_e32 v6, 0xc00, v1
	v_mov_b32_e32 v1, 0
	v_mov_b32_e32 v4, 3
	v_lshlrev_b32_e32 v0, 2, v0
	v_lshl_or_b32 v7, v5, 4, v6
	v_lshl_or_b32 v5, v5, 2, v6
	v_lshl_or_b32 v0, s6, 10, v0
	ds_write_b128 v7, v[1:4]
	; wave barrier
	ds_read2st64_b32 v[2:3], v5 offset1:1
	ds_read2st64_b32 v[4:5], v5 offset0:2 offset1:3
	v_lshlrev_b64 v[0:1], 2, v[0:1]
	s_waitcnt lgkmcnt(0)
	v_add_co_u32 v0, vcc_lo, s0, v0
	v_add_co_ci_u32_e64 v1, null, s1, v1, vcc_lo
	global_store_dwordx4 v[0:1], v[2:5], off
	s_endpgm
	.section	.rodata,"a",@progbits
	.p2align	6, 0x0
	.amdhsa_kernel _Z20warp_exchange_kernelILj256ELj4ELj64ELN6hipcub21WarpExchangeAlgorithmE0E18BlockedToStripedOpiEvPT4_
		.amdhsa_group_segment_fixed_size 4096
		.amdhsa_private_segment_fixed_size 0
		.amdhsa_kernarg_size 8
		.amdhsa_user_sgpr_count 6
		.amdhsa_user_sgpr_private_segment_buffer 1
		.amdhsa_user_sgpr_dispatch_ptr 0
		.amdhsa_user_sgpr_queue_ptr 0
		.amdhsa_user_sgpr_kernarg_segment_ptr 1
		.amdhsa_user_sgpr_dispatch_id 0
		.amdhsa_user_sgpr_flat_scratch_init 0
		.amdhsa_user_sgpr_private_segment_size 0
		.amdhsa_wavefront_size32 1
		.amdhsa_uses_dynamic_stack 0
		.amdhsa_system_sgpr_private_segment_wavefront_offset 0
		.amdhsa_system_sgpr_workgroup_id_x 1
		.amdhsa_system_sgpr_workgroup_id_y 0
		.amdhsa_system_sgpr_workgroup_id_z 0
		.amdhsa_system_sgpr_workgroup_info 0
		.amdhsa_system_vgpr_workitem_id 0
		.amdhsa_next_free_vgpr 8
		.amdhsa_next_free_sgpr 7
		.amdhsa_reserve_vcc 1
		.amdhsa_reserve_flat_scratch 0
		.amdhsa_float_round_mode_32 0
		.amdhsa_float_round_mode_16_64 0
		.amdhsa_float_denorm_mode_32 3
		.amdhsa_float_denorm_mode_16_64 3
		.amdhsa_dx10_clamp 1
		.amdhsa_ieee_mode 1
		.amdhsa_fp16_overflow 0
		.amdhsa_workgroup_processor_mode 1
		.amdhsa_memory_ordered 1
		.amdhsa_forward_progress 1
		.amdhsa_shared_vgpr_count 0
		.amdhsa_exception_fp_ieee_invalid_op 0
		.amdhsa_exception_fp_denorm_src 0
		.amdhsa_exception_fp_ieee_div_zero 0
		.amdhsa_exception_fp_ieee_overflow 0
		.amdhsa_exception_fp_ieee_underflow 0
		.amdhsa_exception_fp_ieee_inexact 0
		.amdhsa_exception_int_div_zero 0
	.end_amdhsa_kernel
	.section	.text._Z20warp_exchange_kernelILj256ELj4ELj64ELN6hipcub21WarpExchangeAlgorithmE0E18BlockedToStripedOpiEvPT4_,"axG",@progbits,_Z20warp_exchange_kernelILj256ELj4ELj64ELN6hipcub21WarpExchangeAlgorithmE0E18BlockedToStripedOpiEvPT4_,comdat
.Lfunc_end26:
	.size	_Z20warp_exchange_kernelILj256ELj4ELj64ELN6hipcub21WarpExchangeAlgorithmE0E18BlockedToStripedOpiEvPT4_, .Lfunc_end26-_Z20warp_exchange_kernelILj256ELj4ELj64ELN6hipcub21WarpExchangeAlgorithmE0E18BlockedToStripedOpiEvPT4_
                                        ; -- End function
	.set _Z20warp_exchange_kernelILj256ELj4ELj64ELN6hipcub21WarpExchangeAlgorithmE0E18BlockedToStripedOpiEvPT4_.num_vgpr, 8
	.set _Z20warp_exchange_kernelILj256ELj4ELj64ELN6hipcub21WarpExchangeAlgorithmE0E18BlockedToStripedOpiEvPT4_.num_agpr, 0
	.set _Z20warp_exchange_kernelILj256ELj4ELj64ELN6hipcub21WarpExchangeAlgorithmE0E18BlockedToStripedOpiEvPT4_.numbered_sgpr, 7
	.set _Z20warp_exchange_kernelILj256ELj4ELj64ELN6hipcub21WarpExchangeAlgorithmE0E18BlockedToStripedOpiEvPT4_.num_named_barrier, 0
	.set _Z20warp_exchange_kernelILj256ELj4ELj64ELN6hipcub21WarpExchangeAlgorithmE0E18BlockedToStripedOpiEvPT4_.private_seg_size, 0
	.set _Z20warp_exchange_kernelILj256ELj4ELj64ELN6hipcub21WarpExchangeAlgorithmE0E18BlockedToStripedOpiEvPT4_.uses_vcc, 1
	.set _Z20warp_exchange_kernelILj256ELj4ELj64ELN6hipcub21WarpExchangeAlgorithmE0E18BlockedToStripedOpiEvPT4_.uses_flat_scratch, 0
	.set _Z20warp_exchange_kernelILj256ELj4ELj64ELN6hipcub21WarpExchangeAlgorithmE0E18BlockedToStripedOpiEvPT4_.has_dyn_sized_stack, 0
	.set _Z20warp_exchange_kernelILj256ELj4ELj64ELN6hipcub21WarpExchangeAlgorithmE0E18BlockedToStripedOpiEvPT4_.has_recursion, 0
	.set _Z20warp_exchange_kernelILj256ELj4ELj64ELN6hipcub21WarpExchangeAlgorithmE0E18BlockedToStripedOpiEvPT4_.has_indirect_call, 0
	.section	.AMDGPU.csdata,"",@progbits
; Kernel info:
; codeLenInByte = 136
; TotalNumSgprs: 9
; NumVgprs: 8
; ScratchSize: 0
; MemoryBound: 0
; FloatMode: 240
; IeeeMode: 1
; LDSByteSize: 4096 bytes/workgroup (compile time only)
; SGPRBlocks: 0
; VGPRBlocks: 0
; NumSGPRsForWavesPerEU: 9
; NumVGPRsForWavesPerEU: 8
; Occupancy: 16
; WaveLimiterHint : 0
; COMPUTE_PGM_RSRC2:SCRATCH_EN: 0
; COMPUTE_PGM_RSRC2:USER_SGPR: 6
; COMPUTE_PGM_RSRC2:TRAP_HANDLER: 0
; COMPUTE_PGM_RSRC2:TGID_X_EN: 1
; COMPUTE_PGM_RSRC2:TGID_Y_EN: 0
; COMPUTE_PGM_RSRC2:TGID_Z_EN: 0
; COMPUTE_PGM_RSRC2:TIDIG_COMP_CNT: 0
	.section	.text._Z20warp_exchange_kernelILj256ELj4ELj64ELN6hipcub21WarpExchangeAlgorithmE1E18BlockedToStripedOpiEvPT4_,"axG",@progbits,_Z20warp_exchange_kernelILj256ELj4ELj64ELN6hipcub21WarpExchangeAlgorithmE1E18BlockedToStripedOpiEvPT4_,comdat
	.protected	_Z20warp_exchange_kernelILj256ELj4ELj64ELN6hipcub21WarpExchangeAlgorithmE1E18BlockedToStripedOpiEvPT4_ ; -- Begin function _Z20warp_exchange_kernelILj256ELj4ELj64ELN6hipcub21WarpExchangeAlgorithmE1E18BlockedToStripedOpiEvPT4_
	.globl	_Z20warp_exchange_kernelILj256ELj4ELj64ELN6hipcub21WarpExchangeAlgorithmE1E18BlockedToStripedOpiEvPT4_
	.p2align	8
	.type	_Z20warp_exchange_kernelILj256ELj4ELj64ELN6hipcub21WarpExchangeAlgorithmE1E18BlockedToStripedOpiEvPT4_,@function
_Z20warp_exchange_kernelILj256ELj4ELj64ELN6hipcub21WarpExchangeAlgorithmE1E18BlockedToStripedOpiEvPT4_: ; @_Z20warp_exchange_kernelILj256ELj4ELj64ELN6hipcub21WarpExchangeAlgorithmE1E18BlockedToStripedOpiEvPT4_
; %bb.0:
	v_mbcnt_lo_u32_b32 v1, -1, 0
	s_load_dwordx2 s[0:1], s[4:5], 0x0
	v_lshlrev_b32_e32 v0, 2, v0
	v_mov_b32_e32 v2, 0
	v_and_b32_e32 v3, 3, v1
	v_cmp_eq_u32_e32 vcc_lo, 1, v3
	v_cndmask_b32_e64 v1, 0, 1, vcc_lo
	v_cmp_ne_u32_e32 vcc_lo, 2, v3
	v_cndmask_b32_e32 v4, 2, v1, vcc_lo
	v_lshl_or_b32 v1, s6, 10, v0
	v_cmp_ne_u32_e32 vcc_lo, 3, v3
	v_cndmask_b32_e32 v0, 3, v4, vcc_lo
	v_lshlrev_b64 v[4:5], 2, v[1:2]
	v_mov_b32_e32 v1, v0
	v_mov_b32_e32 v2, v0
	s_waitcnt lgkmcnt(0)
	v_add_co_u32 v4, vcc_lo, s0, v4
	v_mov_b32_e32 v3, v0
	v_add_co_ci_u32_e64 v5, null, s1, v5, vcc_lo
	global_store_dwordx4 v[4:5], v[0:3], off
	s_endpgm
	.section	.rodata,"a",@progbits
	.p2align	6, 0x0
	.amdhsa_kernel _Z20warp_exchange_kernelILj256ELj4ELj64ELN6hipcub21WarpExchangeAlgorithmE1E18BlockedToStripedOpiEvPT4_
		.amdhsa_group_segment_fixed_size 0
		.amdhsa_private_segment_fixed_size 0
		.amdhsa_kernarg_size 8
		.amdhsa_user_sgpr_count 6
		.amdhsa_user_sgpr_private_segment_buffer 1
		.amdhsa_user_sgpr_dispatch_ptr 0
		.amdhsa_user_sgpr_queue_ptr 0
		.amdhsa_user_sgpr_kernarg_segment_ptr 1
		.amdhsa_user_sgpr_dispatch_id 0
		.amdhsa_user_sgpr_flat_scratch_init 0
		.amdhsa_user_sgpr_private_segment_size 0
		.amdhsa_wavefront_size32 1
		.amdhsa_uses_dynamic_stack 0
		.amdhsa_system_sgpr_private_segment_wavefront_offset 0
		.amdhsa_system_sgpr_workgroup_id_x 1
		.amdhsa_system_sgpr_workgroup_id_y 0
		.amdhsa_system_sgpr_workgroup_id_z 0
		.amdhsa_system_sgpr_workgroup_info 0
		.amdhsa_system_vgpr_workitem_id 0
		.amdhsa_next_free_vgpr 6
		.amdhsa_next_free_sgpr 7
		.amdhsa_reserve_vcc 1
		.amdhsa_reserve_flat_scratch 0
		.amdhsa_float_round_mode_32 0
		.amdhsa_float_round_mode_16_64 0
		.amdhsa_float_denorm_mode_32 3
		.amdhsa_float_denorm_mode_16_64 3
		.amdhsa_dx10_clamp 1
		.amdhsa_ieee_mode 1
		.amdhsa_fp16_overflow 0
		.amdhsa_workgroup_processor_mode 1
		.amdhsa_memory_ordered 1
		.amdhsa_forward_progress 1
		.amdhsa_shared_vgpr_count 0
		.amdhsa_exception_fp_ieee_invalid_op 0
		.amdhsa_exception_fp_denorm_src 0
		.amdhsa_exception_fp_ieee_div_zero 0
		.amdhsa_exception_fp_ieee_overflow 0
		.amdhsa_exception_fp_ieee_underflow 0
		.amdhsa_exception_fp_ieee_inexact 0
		.amdhsa_exception_int_div_zero 0
	.end_amdhsa_kernel
	.section	.text._Z20warp_exchange_kernelILj256ELj4ELj64ELN6hipcub21WarpExchangeAlgorithmE1E18BlockedToStripedOpiEvPT4_,"axG",@progbits,_Z20warp_exchange_kernelILj256ELj4ELj64ELN6hipcub21WarpExchangeAlgorithmE1E18BlockedToStripedOpiEvPT4_,comdat
.Lfunc_end27:
	.size	_Z20warp_exchange_kernelILj256ELj4ELj64ELN6hipcub21WarpExchangeAlgorithmE1E18BlockedToStripedOpiEvPT4_, .Lfunc_end27-_Z20warp_exchange_kernelILj256ELj4ELj64ELN6hipcub21WarpExchangeAlgorithmE1E18BlockedToStripedOpiEvPT4_
                                        ; -- End function
	.set _Z20warp_exchange_kernelILj256ELj4ELj64ELN6hipcub21WarpExchangeAlgorithmE1E18BlockedToStripedOpiEvPT4_.num_vgpr, 6
	.set _Z20warp_exchange_kernelILj256ELj4ELj64ELN6hipcub21WarpExchangeAlgorithmE1E18BlockedToStripedOpiEvPT4_.num_agpr, 0
	.set _Z20warp_exchange_kernelILj256ELj4ELj64ELN6hipcub21WarpExchangeAlgorithmE1E18BlockedToStripedOpiEvPT4_.numbered_sgpr, 7
	.set _Z20warp_exchange_kernelILj256ELj4ELj64ELN6hipcub21WarpExchangeAlgorithmE1E18BlockedToStripedOpiEvPT4_.num_named_barrier, 0
	.set _Z20warp_exchange_kernelILj256ELj4ELj64ELN6hipcub21WarpExchangeAlgorithmE1E18BlockedToStripedOpiEvPT4_.private_seg_size, 0
	.set _Z20warp_exchange_kernelILj256ELj4ELj64ELN6hipcub21WarpExchangeAlgorithmE1E18BlockedToStripedOpiEvPT4_.uses_vcc, 1
	.set _Z20warp_exchange_kernelILj256ELj4ELj64ELN6hipcub21WarpExchangeAlgorithmE1E18BlockedToStripedOpiEvPT4_.uses_flat_scratch, 0
	.set _Z20warp_exchange_kernelILj256ELj4ELj64ELN6hipcub21WarpExchangeAlgorithmE1E18BlockedToStripedOpiEvPT4_.has_dyn_sized_stack, 0
	.set _Z20warp_exchange_kernelILj256ELj4ELj64ELN6hipcub21WarpExchangeAlgorithmE1E18BlockedToStripedOpiEvPT4_.has_recursion, 0
	.set _Z20warp_exchange_kernelILj256ELj4ELj64ELN6hipcub21WarpExchangeAlgorithmE1E18BlockedToStripedOpiEvPT4_.has_indirect_call, 0
	.section	.AMDGPU.csdata,"",@progbits
; Kernel info:
; codeLenInByte = 116
; TotalNumSgprs: 9
; NumVgprs: 6
; ScratchSize: 0
; MemoryBound: 0
; FloatMode: 240
; IeeeMode: 1
; LDSByteSize: 0 bytes/workgroup (compile time only)
; SGPRBlocks: 0
; VGPRBlocks: 0
; NumSGPRsForWavesPerEU: 9
; NumVGPRsForWavesPerEU: 6
; Occupancy: 16
; WaveLimiterHint : 0
; COMPUTE_PGM_RSRC2:SCRATCH_EN: 0
; COMPUTE_PGM_RSRC2:USER_SGPR: 6
; COMPUTE_PGM_RSRC2:TRAP_HANDLER: 0
; COMPUTE_PGM_RSRC2:TGID_X_EN: 1
; COMPUTE_PGM_RSRC2:TGID_Y_EN: 0
; COMPUTE_PGM_RSRC2:TGID_Z_EN: 0
; COMPUTE_PGM_RSRC2:TIDIG_COMP_CNT: 0
	.section	.text._Z39warp_exchange_scatter_to_striped_kernelIiLj256ELj4ELj64EiEvPT3_,"axG",@progbits,_Z39warp_exchange_scatter_to_striped_kernelIiLj256ELj4ELj64EiEvPT3_,comdat
	.protected	_Z39warp_exchange_scatter_to_striped_kernelIiLj256ELj4ELj64EiEvPT3_ ; -- Begin function _Z39warp_exchange_scatter_to_striped_kernelIiLj256ELj4ELj64EiEvPT3_
	.globl	_Z39warp_exchange_scatter_to_striped_kernelIiLj256ELj4ELj64EiEvPT3_
	.p2align	8
	.type	_Z39warp_exchange_scatter_to_striped_kernelIiLj256ELj4ELj64EiEvPT3_,@function
_Z39warp_exchange_scatter_to_striped_kernelIiLj256ELj4ELj64EiEvPT3_: ; @_Z39warp_exchange_scatter_to_striped_kernelIiLj256ELj4ELj64EiEvPT3_
; %bb.0:
	v_lshrrev_b32_e32 v3, 6, v0
	s_load_dwordx2 s[0:1], s[4:5], 0x0
	v_lshl_or_b32 v4, s6, 10, v0
	v_mbcnt_lo_u32_b32 v0, -1, 0
	v_mov_b32_e32 v5, 0
	v_lshlrev_b32_e32 v6, 4, v3
	v_lshlrev_b32_e32 v10, 10, v3
	v_mov_b32_e32 v1, 3
	v_mov_b32_e32 v2, 2
	;; [unrolled: 1-line block ×3, first 2 shown]
	v_xor_b32_e32 v8, 0xf0, v6
	v_sub_nc_u32_e32 v12, v10, v6
	v_mov_b32_e32 v7, v5
	v_or_b32_e32 v6, 0x100, v4
	v_or_b32_e32 v11, v10, v8
	v_lshl_or_b32 v10, v0, 2, v10
	v_lshlrev_b64 v[8:9], 2, v[4:5]
	v_lshlrev_b64 v[6:7], 2, v[6:7]
	ds_write_b32 v11, v5 offset:12
	ds_write_b96 v12, v[1:3] offset:240
	; wave barrier
	ds_read2st64_b32 v[0:1], v10 offset1:1
	ds_read2st64_b32 v[2:3], v10 offset0:2 offset1:3
	v_or_b32_e32 v10, 0x200, v4
	v_mov_b32_e32 v11, v5
	v_or_b32_e32 v4, 0x300, v4
	s_waitcnt lgkmcnt(0)
	v_add_co_u32 v8, vcc_lo, s0, v8
	v_add_co_ci_u32_e64 v9, null, s1, v9, vcc_lo
	v_lshlrev_b64 v[10:11], 2, v[10:11]
	v_lshlrev_b64 v[4:5], 2, v[4:5]
	v_add_co_u32 v6, vcc_lo, s0, v6
	v_add_co_ci_u32_e64 v7, null, s1, v7, vcc_lo
	v_add_co_u32 v10, vcc_lo, s0, v10
	v_add_co_ci_u32_e64 v11, null, s1, v11, vcc_lo
	;; [unrolled: 2-line block ×3, first 2 shown]
	global_store_dword v[8:9], v0, off
	global_store_dword v[6:7], v1, off
	;; [unrolled: 1-line block ×4, first 2 shown]
	s_endpgm
	.section	.rodata,"a",@progbits
	.p2align	6, 0x0
	.amdhsa_kernel _Z39warp_exchange_scatter_to_striped_kernelIiLj256ELj4ELj64EiEvPT3_
		.amdhsa_group_segment_fixed_size 4096
		.amdhsa_private_segment_fixed_size 0
		.amdhsa_kernarg_size 8
		.amdhsa_user_sgpr_count 6
		.amdhsa_user_sgpr_private_segment_buffer 1
		.amdhsa_user_sgpr_dispatch_ptr 0
		.amdhsa_user_sgpr_queue_ptr 0
		.amdhsa_user_sgpr_kernarg_segment_ptr 1
		.amdhsa_user_sgpr_dispatch_id 0
		.amdhsa_user_sgpr_flat_scratch_init 0
		.amdhsa_user_sgpr_private_segment_size 0
		.amdhsa_wavefront_size32 1
		.amdhsa_uses_dynamic_stack 0
		.amdhsa_system_sgpr_private_segment_wavefront_offset 0
		.amdhsa_system_sgpr_workgroup_id_x 1
		.amdhsa_system_sgpr_workgroup_id_y 0
		.amdhsa_system_sgpr_workgroup_id_z 0
		.amdhsa_system_sgpr_workgroup_info 0
		.amdhsa_system_vgpr_workitem_id 0
		.amdhsa_next_free_vgpr 13
		.amdhsa_next_free_sgpr 7
		.amdhsa_reserve_vcc 1
		.amdhsa_reserve_flat_scratch 0
		.amdhsa_float_round_mode_32 0
		.amdhsa_float_round_mode_16_64 0
		.amdhsa_float_denorm_mode_32 3
		.amdhsa_float_denorm_mode_16_64 3
		.amdhsa_dx10_clamp 1
		.amdhsa_ieee_mode 1
		.amdhsa_fp16_overflow 0
		.amdhsa_workgroup_processor_mode 1
		.amdhsa_memory_ordered 1
		.amdhsa_forward_progress 1
		.amdhsa_shared_vgpr_count 0
		.amdhsa_exception_fp_ieee_invalid_op 0
		.amdhsa_exception_fp_denorm_src 0
		.amdhsa_exception_fp_ieee_div_zero 0
		.amdhsa_exception_fp_ieee_overflow 0
		.amdhsa_exception_fp_ieee_underflow 0
		.amdhsa_exception_fp_ieee_inexact 0
		.amdhsa_exception_int_div_zero 0
	.end_amdhsa_kernel
	.section	.text._Z39warp_exchange_scatter_to_striped_kernelIiLj256ELj4ELj64EiEvPT3_,"axG",@progbits,_Z39warp_exchange_scatter_to_striped_kernelIiLj256ELj4ELj64EiEvPT3_,comdat
.Lfunc_end28:
	.size	_Z39warp_exchange_scatter_to_striped_kernelIiLj256ELj4ELj64EiEvPT3_, .Lfunc_end28-_Z39warp_exchange_scatter_to_striped_kernelIiLj256ELj4ELj64EiEvPT3_
                                        ; -- End function
	.set _Z39warp_exchange_scatter_to_striped_kernelIiLj256ELj4ELj64EiEvPT3_.num_vgpr, 13
	.set _Z39warp_exchange_scatter_to_striped_kernelIiLj256ELj4ELj64EiEvPT3_.num_agpr, 0
	.set _Z39warp_exchange_scatter_to_striped_kernelIiLj256ELj4ELj64EiEvPT3_.numbered_sgpr, 7
	.set _Z39warp_exchange_scatter_to_striped_kernelIiLj256ELj4ELj64EiEvPT3_.num_named_barrier, 0
	.set _Z39warp_exchange_scatter_to_striped_kernelIiLj256ELj4ELj64EiEvPT3_.private_seg_size, 0
	.set _Z39warp_exchange_scatter_to_striped_kernelIiLj256ELj4ELj64EiEvPT3_.uses_vcc, 1
	.set _Z39warp_exchange_scatter_to_striped_kernelIiLj256ELj4ELj64EiEvPT3_.uses_flat_scratch, 0
	.set _Z39warp_exchange_scatter_to_striped_kernelIiLj256ELj4ELj64EiEvPT3_.has_dyn_sized_stack, 0
	.set _Z39warp_exchange_scatter_to_striped_kernelIiLj256ELj4ELj64EiEvPT3_.has_recursion, 0
	.set _Z39warp_exchange_scatter_to_striped_kernelIiLj256ELj4ELj64EiEvPT3_.has_indirect_call, 0
	.section	.AMDGPU.csdata,"",@progbits
; Kernel info:
; codeLenInByte = 276
; TotalNumSgprs: 9
; NumVgprs: 13
; ScratchSize: 0
; MemoryBound: 0
; FloatMode: 240
; IeeeMode: 1
; LDSByteSize: 4096 bytes/workgroup (compile time only)
; SGPRBlocks: 0
; VGPRBlocks: 1
; NumSGPRsForWavesPerEU: 9
; NumVGPRsForWavesPerEU: 13
; Occupancy: 16
; WaveLimiterHint : 0
; COMPUTE_PGM_RSRC2:SCRATCH_EN: 0
; COMPUTE_PGM_RSRC2:USER_SGPR: 6
; COMPUTE_PGM_RSRC2:TRAP_HANDLER: 0
; COMPUTE_PGM_RSRC2:TGID_X_EN: 1
; COMPUTE_PGM_RSRC2:TGID_Y_EN: 0
; COMPUTE_PGM_RSRC2:TGID_Z_EN: 0
; COMPUTE_PGM_RSRC2:TIDIG_COMP_CNT: 0
	.section	.AMDGPU.gpr_maximums,"",@progbits
	.set amdgpu.max_num_vgpr, 0
	.set amdgpu.max_num_agpr, 0
	.set amdgpu.max_num_sgpr, 0
	.section	.AMDGPU.csdata,"",@progbits
	.type	__hip_cuid_da948e444f1aa830,@object ; @__hip_cuid_da948e444f1aa830
	.section	.bss,"aw",@nobits
	.globl	__hip_cuid_da948e444f1aa830
__hip_cuid_da948e444f1aa830:
	.byte	0                               ; 0x0
	.size	__hip_cuid_da948e444f1aa830, 1

	.ident	"AMD clang version 22.0.0git (https://github.com/RadeonOpenCompute/llvm-project roc-7.2.4 26084 f58b06dce1f9c15707c5f808fd002e18c2accf7e)"
	.section	".note.GNU-stack","",@progbits
	.addrsig
	.addrsig_sym __hip_cuid_da948e444f1aa830
	.amdgpu_metadata
---
amdhsa.kernels:
  - .args:
      - .address_space:  global
        .offset:         0
        .size:           8
        .value_kind:     global_buffer
    .group_segment_fixed_size: 2048
    .kernarg_segment_align: 8
    .kernarg_segment_size: 8
    .language:       OpenCL C
    .language_version:
      - 2
      - 0
    .max_flat_workgroup_size: 128
    .name:           _Z20warp_exchange_kernelILj128ELj4ELj16ELN6hipcub21WarpExchangeAlgorithmE0E18StripedToBlockedOpiEvPT4_
    .private_segment_fixed_size: 0
    .sgpr_count:     9
    .sgpr_spill_count: 0
    .symbol:         _Z20warp_exchange_kernelILj128ELj4ELj16ELN6hipcub21WarpExchangeAlgorithmE0E18StripedToBlockedOpiEvPT4_.kd
    .uniform_work_group_size: 1
    .uses_dynamic_stack: false
    .vgpr_count:     9
    .vgpr_spill_count: 0
    .wavefront_size: 32
    .workgroup_processor_mode: 1
  - .args:
      - .address_space:  global
        .offset:         0
        .size:           8
        .value_kind:     global_buffer
    .group_segment_fixed_size: 2048
    .kernarg_segment_align: 8
    .kernarg_segment_size: 8
    .language:       OpenCL C
    .language_version:
      - 2
      - 0
    .max_flat_workgroup_size: 128
    .name:           _Z20warp_exchange_kernelILj128ELj4ELj16ELN6hipcub21WarpExchangeAlgorithmE0E18BlockedToStripedOpiEvPT4_
    .private_segment_fixed_size: 0
    .sgpr_count:     9
    .sgpr_spill_count: 0
    .symbol:         _Z20warp_exchange_kernelILj128ELj4ELj16ELN6hipcub21WarpExchangeAlgorithmE0E18BlockedToStripedOpiEvPT4_.kd
    .uniform_work_group_size: 1
    .uses_dynamic_stack: false
    .vgpr_count:     7
    .vgpr_spill_count: 0
    .wavefront_size: 32
    .workgroup_processor_mode: 1
  - .args:
      - .address_space:  global
        .offset:         0
        .size:           8
        .value_kind:     global_buffer
    .group_segment_fixed_size: 8192
    .kernarg_segment_align: 8
    .kernarg_segment_size: 8
    .language:       OpenCL C
    .language_version:
      - 2
      - 0
    .max_flat_workgroup_size: 128
    .name:           _Z20warp_exchange_kernelILj128ELj16ELj16ELN6hipcub21WarpExchangeAlgorithmE0E18StripedToBlockedOpiEvPT4_
    .private_segment_fixed_size: 0
    .sgpr_count:     9
    .sgpr_spill_count: 0
    .symbol:         _Z20warp_exchange_kernelILj128ELj16ELj16ELN6hipcub21WarpExchangeAlgorithmE0E18StripedToBlockedOpiEvPT4_.kd
    .uniform_work_group_size: 1
    .uses_dynamic_stack: false
    .vgpr_count:     18
    .vgpr_spill_count: 0
    .wavefront_size: 32
    .workgroup_processor_mode: 1
  - .args:
      - .address_space:  global
        .offset:         0
        .size:           8
        .value_kind:     global_buffer
    .group_segment_fixed_size: 8192
    .kernarg_segment_align: 8
    .kernarg_segment_size: 8
    .language:       OpenCL C
    .language_version:
      - 2
      - 0
    .max_flat_workgroup_size: 128
    .name:           _Z20warp_exchange_kernelILj128ELj16ELj16ELN6hipcub21WarpExchangeAlgorithmE0E18BlockedToStripedOpiEvPT4_
    .private_segment_fixed_size: 0
    .sgpr_count:     9
    .sgpr_spill_count: 0
    .symbol:         _Z20warp_exchange_kernelILj128ELj16ELj16ELN6hipcub21WarpExchangeAlgorithmE0E18BlockedToStripedOpiEvPT4_.kd
    .uniform_work_group_size: 1
    .uses_dynamic_stack: false
    .vgpr_count:     19
    .vgpr_spill_count: 0
    .wavefront_size: 32
    .workgroup_processor_mode: 1
  - .args:
      - .address_space:  global
        .offset:         0
        .size:           8
        .value_kind:     global_buffer
    .group_segment_fixed_size: 2048
    .kernarg_segment_align: 8
    .kernarg_segment_size: 8
    .language:       OpenCL C
    .language_version:
      - 2
      - 0
    .max_flat_workgroup_size: 128
    .name:           _Z20warp_exchange_kernelILj128ELj4ELj32ELN6hipcub21WarpExchangeAlgorithmE0E18StripedToBlockedOpiEvPT4_
    .private_segment_fixed_size: 0
    .sgpr_count:     9
    .sgpr_spill_count: 0
    .symbol:         _Z20warp_exchange_kernelILj128ELj4ELj32ELN6hipcub21WarpExchangeAlgorithmE0E18StripedToBlockedOpiEvPT4_.kd
    .uniform_work_group_size: 1
    .uses_dynamic_stack: false
    .vgpr_count:     9
    .vgpr_spill_count: 0
    .wavefront_size: 32
    .workgroup_processor_mode: 1
  - .args:
      - .address_space:  global
        .offset:         0
        .size:           8
        .value_kind:     global_buffer
    .group_segment_fixed_size: 2048
    .kernarg_segment_align: 8
    .kernarg_segment_size: 8
    .language:       OpenCL C
    .language_version:
      - 2
      - 0
    .max_flat_workgroup_size: 128
    .name:           _Z20warp_exchange_kernelILj128ELj4ELj32ELN6hipcub21WarpExchangeAlgorithmE0E18BlockedToStripedOpiEvPT4_
    .private_segment_fixed_size: 0
    .sgpr_count:     9
    .sgpr_spill_count: 0
    .symbol:         _Z20warp_exchange_kernelILj128ELj4ELj32ELN6hipcub21WarpExchangeAlgorithmE0E18BlockedToStripedOpiEvPT4_.kd
    .uniform_work_group_size: 1
    .uses_dynamic_stack: false
    .vgpr_count:     7
    .vgpr_spill_count: 0
    .wavefront_size: 32
    .workgroup_processor_mode: 1
  - .args:
      - .address_space:  global
        .offset:         0
        .size:           8
        .value_kind:     global_buffer
    .group_segment_fixed_size: 4096
    .kernarg_segment_align: 8
    .kernarg_segment_size: 8
    .language:       OpenCL C
    .language_version:
      - 2
      - 0
    .max_flat_workgroup_size: 256
    .name:           _Z20warp_exchange_kernelILj256ELj4ELj32ELN6hipcub21WarpExchangeAlgorithmE0E18StripedToBlockedOpiEvPT4_
    .private_segment_fixed_size: 0
    .sgpr_count:     9
    .sgpr_spill_count: 0
    .symbol:         _Z20warp_exchange_kernelILj256ELj4ELj32ELN6hipcub21WarpExchangeAlgorithmE0E18StripedToBlockedOpiEvPT4_.kd
    .uniform_work_group_size: 1
    .uses_dynamic_stack: false
    .vgpr_count:     9
    .vgpr_spill_count: 0
    .wavefront_size: 32
    .workgroup_processor_mode: 1
  - .args:
      - .address_space:  global
        .offset:         0
        .size:           8
        .value_kind:     global_buffer
    .group_segment_fixed_size: 4096
    .kernarg_segment_align: 8
    .kernarg_segment_size: 8
    .language:       OpenCL C
    .language_version:
      - 2
      - 0
    .max_flat_workgroup_size: 256
    .name:           _Z20warp_exchange_kernelILj256ELj4ELj32ELN6hipcub21WarpExchangeAlgorithmE0E18BlockedToStripedOpiEvPT4_
    .private_segment_fixed_size: 0
    .sgpr_count:     9
    .sgpr_spill_count: 0
    .symbol:         _Z20warp_exchange_kernelILj256ELj4ELj32ELN6hipcub21WarpExchangeAlgorithmE0E18BlockedToStripedOpiEvPT4_.kd
    .uniform_work_group_size: 1
    .uses_dynamic_stack: false
    .vgpr_count:     7
    .vgpr_spill_count: 0
    .wavefront_size: 32
    .workgroup_processor_mode: 1
  - .args:
      - .address_space:  global
        .offset:         0
        .size:           8
        .value_kind:     global_buffer
    .group_segment_fixed_size: 2048
    .kernarg_segment_align: 8
    .kernarg_segment_size: 8
    .language:       OpenCL C
    .language_version:
      - 2
      - 0
    .max_flat_workgroup_size: 128
    .name:           _Z39warp_exchange_scatter_to_striped_kernelIiLj128ELj4ELj16EiEvPT3_
    .private_segment_fixed_size: 0
    .sgpr_count:     9
    .sgpr_spill_count: 0
    .symbol:         _Z39warp_exchange_scatter_to_striped_kernelIiLj128ELj4ELj16EiEvPT3_.kd
    .uniform_work_group_size: 1
    .uses_dynamic_stack: false
    .vgpr_count:     13
    .vgpr_spill_count: 0
    .wavefront_size: 32
    .workgroup_processor_mode: 1
  - .args:
      - .address_space:  global
        .offset:         0
        .size:           8
        .value_kind:     global_buffer
    .group_segment_fixed_size: 2048
    .kernarg_segment_align: 8
    .kernarg_segment_size: 8
    .language:       OpenCL C
    .language_version:
      - 2
      - 0
    .max_flat_workgroup_size: 128
    .name:           _Z39warp_exchange_scatter_to_striped_kernelIiLj128ELj4ELj32EiEvPT3_
    .private_segment_fixed_size: 0
    .sgpr_count:     9
    .sgpr_spill_count: 0
    .symbol:         _Z39warp_exchange_scatter_to_striped_kernelIiLj128ELj4ELj32EiEvPT3_.kd
    .uniform_work_group_size: 1
    .uses_dynamic_stack: false
    .vgpr_count:     13
    .vgpr_spill_count: 0
    .wavefront_size: 32
    .workgroup_processor_mode: 1
  - .args:
      - .address_space:  global
        .offset:         0
        .size:           8
        .value_kind:     global_buffer
    .group_segment_fixed_size: 4096
    .kernarg_segment_align: 8
    .kernarg_segment_size: 8
    .language:       OpenCL C
    .language_version:
      - 2
      - 0
    .max_flat_workgroup_size: 256
    .name:           _Z39warp_exchange_scatter_to_striped_kernelIiLj256ELj4ELj32EiEvPT3_
    .private_segment_fixed_size: 0
    .sgpr_count:     9
    .sgpr_spill_count: 0
    .symbol:         _Z39warp_exchange_scatter_to_striped_kernelIiLj256ELj4ELj32EiEvPT3_.kd
    .uniform_work_group_size: 1
    .uses_dynamic_stack: false
    .vgpr_count:     13
    .vgpr_spill_count: 0
    .wavefront_size: 32
    .workgroup_processor_mode: 1
  - .args:
      - .address_space:  global
        .offset:         0
        .size:           8
        .value_kind:     global_buffer
    .group_segment_fixed_size: 0
    .kernarg_segment_align: 8
    .kernarg_segment_size: 8
    .language:       OpenCL C
    .language_version:
      - 2
      - 0
    .max_flat_workgroup_size: 128
    .name:           _Z20warp_exchange_kernelILj128ELj16ELj16ELN6hipcub21WarpExchangeAlgorithmE1E18StripedToBlockedOpiEvPT4_
    .private_segment_fixed_size: 0
    .sgpr_count:     9
    .sgpr_spill_count: 0
    .symbol:         _Z20warp_exchange_kernelILj128ELj16ELj16ELN6hipcub21WarpExchangeAlgorithmE1E18StripedToBlockedOpiEvPT4_.kd
    .uniform_work_group_size: 1
    .uses_dynamic_stack: false
    .vgpr_count:     31
    .vgpr_spill_count: 0
    .wavefront_size: 32
    .workgroup_processor_mode: 1
  - .args:
      - .address_space:  global
        .offset:         0
        .size:           8
        .value_kind:     global_buffer
    .group_segment_fixed_size: 0
    .kernarg_segment_align: 8
    .kernarg_segment_size: 8
    .language:       OpenCL C
    .language_version:
      - 2
      - 0
    .max_flat_workgroup_size: 128
    .name:           _Z20warp_exchange_kernelILj128ELj16ELj16ELN6hipcub21WarpExchangeAlgorithmE1E18BlockedToStripedOpiEvPT4_
    .private_segment_fixed_size: 0
    .sgpr_count:     9
    .sgpr_spill_count: 0
    .symbol:         _Z20warp_exchange_kernelILj128ELj16ELj16ELN6hipcub21WarpExchangeAlgorithmE1E18BlockedToStripedOpiEvPT4_.kd
    .uniform_work_group_size: 1
    .uses_dynamic_stack: false
    .vgpr_count:     31
    .vgpr_spill_count: 0
    .wavefront_size: 32
    .workgroup_processor_mode: 1
  - .args:
      - .address_space:  global
        .offset:         0
        .size:           8
        .value_kind:     global_buffer
    .group_segment_fixed_size: 0
    .kernarg_segment_align: 8
    .kernarg_segment_size: 8
    .language:       OpenCL C
    .language_version:
      - 2
      - 0
    .max_flat_workgroup_size: 128
    .name:           _Z20warp_exchange_kernelILj128ELj4ELj16ELN6hipcub21WarpExchangeAlgorithmE1E18StripedToBlockedOpiEvPT4_
    .private_segment_fixed_size: 0
    .sgpr_count:     9
    .sgpr_spill_count: 0
    .symbol:         _Z20warp_exchange_kernelILj128ELj4ELj16ELN6hipcub21WarpExchangeAlgorithmE1E18StripedToBlockedOpiEvPT4_.kd
    .uniform_work_group_size: 1
    .uses_dynamic_stack: false
    .vgpr_count:     6
    .vgpr_spill_count: 0
    .wavefront_size: 32
    .workgroup_processor_mode: 1
  - .args:
      - .address_space:  global
        .offset:         0
        .size:           8
        .value_kind:     global_buffer
    .group_segment_fixed_size: 0
    .kernarg_segment_align: 8
    .kernarg_segment_size: 8
    .language:       OpenCL C
    .language_version:
      - 2
      - 0
    .max_flat_workgroup_size: 128
    .name:           _Z20warp_exchange_kernelILj128ELj4ELj16ELN6hipcub21WarpExchangeAlgorithmE1E18BlockedToStripedOpiEvPT4_
    .private_segment_fixed_size: 0
    .sgpr_count:     9
    .sgpr_spill_count: 0
    .symbol:         _Z20warp_exchange_kernelILj128ELj4ELj16ELN6hipcub21WarpExchangeAlgorithmE1E18BlockedToStripedOpiEvPT4_.kd
    .uniform_work_group_size: 1
    .uses_dynamic_stack: false
    .vgpr_count:     6
    .vgpr_spill_count: 0
    .wavefront_size: 32
    .workgroup_processor_mode: 1
  - .args:
      - .address_space:  global
        .offset:         0
        .size:           8
        .value_kind:     global_buffer
    .group_segment_fixed_size: 0
    .kernarg_segment_align: 8
    .kernarg_segment_size: 8
    .language:       OpenCL C
    .language_version:
      - 2
      - 0
    .max_flat_workgroup_size: 128
    .name:           _Z20warp_exchange_kernelILj128ELj4ELj32ELN6hipcub21WarpExchangeAlgorithmE1E18StripedToBlockedOpiEvPT4_
    .private_segment_fixed_size: 0
    .sgpr_count:     9
    .sgpr_spill_count: 0
    .symbol:         _Z20warp_exchange_kernelILj128ELj4ELj32ELN6hipcub21WarpExchangeAlgorithmE1E18StripedToBlockedOpiEvPT4_.kd
    .uniform_work_group_size: 1
    .uses_dynamic_stack: false
    .vgpr_count:     6
    .vgpr_spill_count: 0
    .wavefront_size: 32
    .workgroup_processor_mode: 1
  - .args:
      - .address_space:  global
        .offset:         0
        .size:           8
        .value_kind:     global_buffer
    .group_segment_fixed_size: 0
    .kernarg_segment_align: 8
    .kernarg_segment_size: 8
    .language:       OpenCL C
    .language_version:
      - 2
      - 0
    .max_flat_workgroup_size: 128
    .name:           _Z20warp_exchange_kernelILj128ELj4ELj32ELN6hipcub21WarpExchangeAlgorithmE1E18BlockedToStripedOpiEvPT4_
    .private_segment_fixed_size: 0
    .sgpr_count:     9
    .sgpr_spill_count: 0
    .symbol:         _Z20warp_exchange_kernelILj128ELj4ELj32ELN6hipcub21WarpExchangeAlgorithmE1E18BlockedToStripedOpiEvPT4_.kd
    .uniform_work_group_size: 1
    .uses_dynamic_stack: false
    .vgpr_count:     6
    .vgpr_spill_count: 0
    .wavefront_size: 32
    .workgroup_processor_mode: 1
  - .args:
      - .address_space:  global
        .offset:         0
        .size:           8
        .value_kind:     global_buffer
    .group_segment_fixed_size: 0
    .kernarg_segment_align: 8
    .kernarg_segment_size: 8
    .language:       OpenCL C
    .language_version:
      - 2
      - 0
    .max_flat_workgroup_size: 256
    .name:           _Z20warp_exchange_kernelILj256ELj4ELj32ELN6hipcub21WarpExchangeAlgorithmE1E18StripedToBlockedOpiEvPT4_
    .private_segment_fixed_size: 0
    .sgpr_count:     9
    .sgpr_spill_count: 0
    .symbol:         _Z20warp_exchange_kernelILj256ELj4ELj32ELN6hipcub21WarpExchangeAlgorithmE1E18StripedToBlockedOpiEvPT4_.kd
    .uniform_work_group_size: 1
    .uses_dynamic_stack: false
    .vgpr_count:     6
    .vgpr_spill_count: 0
    .wavefront_size: 32
    .workgroup_processor_mode: 1
  - .args:
      - .address_space:  global
        .offset:         0
        .size:           8
        .value_kind:     global_buffer
    .group_segment_fixed_size: 0
    .kernarg_segment_align: 8
    .kernarg_segment_size: 8
    .language:       OpenCL C
    .language_version:
      - 2
      - 0
    .max_flat_workgroup_size: 256
    .name:           _Z20warp_exchange_kernelILj256ELj4ELj32ELN6hipcub21WarpExchangeAlgorithmE1E18BlockedToStripedOpiEvPT4_
    .private_segment_fixed_size: 0
    .sgpr_count:     9
    .sgpr_spill_count: 0
    .symbol:         _Z20warp_exchange_kernelILj256ELj4ELj32ELN6hipcub21WarpExchangeAlgorithmE1E18BlockedToStripedOpiEvPT4_.kd
    .uniform_work_group_size: 1
    .uses_dynamic_stack: false
    .vgpr_count:     6
    .vgpr_spill_count: 0
    .wavefront_size: 32
    .workgroup_processor_mode: 1
  - .args:
      - .address_space:  global
        .offset:         0
        .size:           8
        .value_kind:     global_buffer
    .group_segment_fixed_size: 2048
    .kernarg_segment_align: 8
    .kernarg_segment_size: 8
    .language:       OpenCL C
    .language_version:
      - 2
      - 0
    .max_flat_workgroup_size: 128
    .name:           _Z20warp_exchange_kernelILj128ELj4ELj64ELN6hipcub21WarpExchangeAlgorithmE0E18StripedToBlockedOpiEvPT4_
    .private_segment_fixed_size: 0
    .sgpr_count:     9
    .sgpr_spill_count: 0
    .symbol:         _Z20warp_exchange_kernelILj128ELj4ELj64ELN6hipcub21WarpExchangeAlgorithmE0E18StripedToBlockedOpiEvPT4_.kd
    .uniform_work_group_size: 1
    .uses_dynamic_stack: false
    .vgpr_count:     9
    .vgpr_spill_count: 0
    .wavefront_size: 32
    .workgroup_processor_mode: 1
  - .args:
      - .address_space:  global
        .offset:         0
        .size:           8
        .value_kind:     global_buffer
    .group_segment_fixed_size: 0
    .kernarg_segment_align: 8
    .kernarg_segment_size: 8
    .language:       OpenCL C
    .language_version:
      - 2
      - 0
    .max_flat_workgroup_size: 128
    .name:           _Z20warp_exchange_kernelILj128ELj4ELj64ELN6hipcub21WarpExchangeAlgorithmE1E18StripedToBlockedOpiEvPT4_
    .private_segment_fixed_size: 0
    .sgpr_count:     9
    .sgpr_spill_count: 0
    .symbol:         _Z20warp_exchange_kernelILj128ELj4ELj64ELN6hipcub21WarpExchangeAlgorithmE1E18StripedToBlockedOpiEvPT4_.kd
    .uniform_work_group_size: 1
    .uses_dynamic_stack: false
    .vgpr_count:     6
    .vgpr_spill_count: 0
    .wavefront_size: 32
    .workgroup_processor_mode: 1
  - .args:
      - .address_space:  global
        .offset:         0
        .size:           8
        .value_kind:     global_buffer
    .group_segment_fixed_size: 2048
    .kernarg_segment_align: 8
    .kernarg_segment_size: 8
    .language:       OpenCL C
    .language_version:
      - 2
      - 0
    .max_flat_workgroup_size: 128
    .name:           _Z20warp_exchange_kernelILj128ELj4ELj64ELN6hipcub21WarpExchangeAlgorithmE0E18BlockedToStripedOpiEvPT4_
    .private_segment_fixed_size: 0
    .sgpr_count:     9
    .sgpr_spill_count: 0
    .symbol:         _Z20warp_exchange_kernelILj128ELj4ELj64ELN6hipcub21WarpExchangeAlgorithmE0E18BlockedToStripedOpiEvPT4_.kd
    .uniform_work_group_size: 1
    .uses_dynamic_stack: false
    .vgpr_count:     8
    .vgpr_spill_count: 0
    .wavefront_size: 32
    .workgroup_processor_mode: 1
  - .args:
      - .address_space:  global
        .offset:         0
        .size:           8
        .value_kind:     global_buffer
    .group_segment_fixed_size: 0
    .kernarg_segment_align: 8
    .kernarg_segment_size: 8
    .language:       OpenCL C
    .language_version:
      - 2
      - 0
    .max_flat_workgroup_size: 128
    .name:           _Z20warp_exchange_kernelILj128ELj4ELj64ELN6hipcub21WarpExchangeAlgorithmE1E18BlockedToStripedOpiEvPT4_
    .private_segment_fixed_size: 0
    .sgpr_count:     9
    .sgpr_spill_count: 0
    .symbol:         _Z20warp_exchange_kernelILj128ELj4ELj64ELN6hipcub21WarpExchangeAlgorithmE1E18BlockedToStripedOpiEvPT4_.kd
    .uniform_work_group_size: 1
    .uses_dynamic_stack: false
    .vgpr_count:     6
    .vgpr_spill_count: 0
    .wavefront_size: 32
    .workgroup_processor_mode: 1
  - .args:
      - .address_space:  global
        .offset:         0
        .size:           8
        .value_kind:     global_buffer
    .group_segment_fixed_size: 2048
    .kernarg_segment_align: 8
    .kernarg_segment_size: 8
    .language:       OpenCL C
    .language_version:
      - 2
      - 0
    .max_flat_workgroup_size: 128
    .name:           _Z39warp_exchange_scatter_to_striped_kernelIiLj128ELj4ELj64EiEvPT3_
    .private_segment_fixed_size: 0
    .sgpr_count:     9
    .sgpr_spill_count: 0
    .symbol:         _Z39warp_exchange_scatter_to_striped_kernelIiLj128ELj4ELj64EiEvPT3_.kd
    .uniform_work_group_size: 1
    .uses_dynamic_stack: false
    .vgpr_count:     13
    .vgpr_spill_count: 0
    .wavefront_size: 32
    .workgroup_processor_mode: 1
  - .args:
      - .address_space:  global
        .offset:         0
        .size:           8
        .value_kind:     global_buffer
    .group_segment_fixed_size: 4096
    .kernarg_segment_align: 8
    .kernarg_segment_size: 8
    .language:       OpenCL C
    .language_version:
      - 2
      - 0
    .max_flat_workgroup_size: 256
    .name:           _Z20warp_exchange_kernelILj256ELj4ELj64ELN6hipcub21WarpExchangeAlgorithmE0E18StripedToBlockedOpiEvPT4_
    .private_segment_fixed_size: 0
    .sgpr_count:     9
    .sgpr_spill_count: 0
    .symbol:         _Z20warp_exchange_kernelILj256ELj4ELj64ELN6hipcub21WarpExchangeAlgorithmE0E18StripedToBlockedOpiEvPT4_.kd
    .uniform_work_group_size: 1
    .uses_dynamic_stack: false
    .vgpr_count:     9
    .vgpr_spill_count: 0
    .wavefront_size: 32
    .workgroup_processor_mode: 1
  - .args:
      - .address_space:  global
        .offset:         0
        .size:           8
        .value_kind:     global_buffer
    .group_segment_fixed_size: 0
    .kernarg_segment_align: 8
    .kernarg_segment_size: 8
    .language:       OpenCL C
    .language_version:
      - 2
      - 0
    .max_flat_workgroup_size: 256
    .name:           _Z20warp_exchange_kernelILj256ELj4ELj64ELN6hipcub21WarpExchangeAlgorithmE1E18StripedToBlockedOpiEvPT4_
    .private_segment_fixed_size: 0
    .sgpr_count:     9
    .sgpr_spill_count: 0
    .symbol:         _Z20warp_exchange_kernelILj256ELj4ELj64ELN6hipcub21WarpExchangeAlgorithmE1E18StripedToBlockedOpiEvPT4_.kd
    .uniform_work_group_size: 1
    .uses_dynamic_stack: false
    .vgpr_count:     6
    .vgpr_spill_count: 0
    .wavefront_size: 32
    .workgroup_processor_mode: 1
  - .args:
      - .address_space:  global
        .offset:         0
        .size:           8
        .value_kind:     global_buffer
    .group_segment_fixed_size: 4096
    .kernarg_segment_align: 8
    .kernarg_segment_size: 8
    .language:       OpenCL C
    .language_version:
      - 2
      - 0
    .max_flat_workgroup_size: 256
    .name:           _Z20warp_exchange_kernelILj256ELj4ELj64ELN6hipcub21WarpExchangeAlgorithmE0E18BlockedToStripedOpiEvPT4_
    .private_segment_fixed_size: 0
    .sgpr_count:     9
    .sgpr_spill_count: 0
    .symbol:         _Z20warp_exchange_kernelILj256ELj4ELj64ELN6hipcub21WarpExchangeAlgorithmE0E18BlockedToStripedOpiEvPT4_.kd
    .uniform_work_group_size: 1
    .uses_dynamic_stack: false
    .vgpr_count:     8
    .vgpr_spill_count: 0
    .wavefront_size: 32
    .workgroup_processor_mode: 1
  - .args:
      - .address_space:  global
        .offset:         0
        .size:           8
        .value_kind:     global_buffer
    .group_segment_fixed_size: 0
    .kernarg_segment_align: 8
    .kernarg_segment_size: 8
    .language:       OpenCL C
    .language_version:
      - 2
      - 0
    .max_flat_workgroup_size: 256
    .name:           _Z20warp_exchange_kernelILj256ELj4ELj64ELN6hipcub21WarpExchangeAlgorithmE1E18BlockedToStripedOpiEvPT4_
    .private_segment_fixed_size: 0
    .sgpr_count:     9
    .sgpr_spill_count: 0
    .symbol:         _Z20warp_exchange_kernelILj256ELj4ELj64ELN6hipcub21WarpExchangeAlgorithmE1E18BlockedToStripedOpiEvPT4_.kd
    .uniform_work_group_size: 1
    .uses_dynamic_stack: false
    .vgpr_count:     6
    .vgpr_spill_count: 0
    .wavefront_size: 32
    .workgroup_processor_mode: 1
  - .args:
      - .address_space:  global
        .offset:         0
        .size:           8
        .value_kind:     global_buffer
    .group_segment_fixed_size: 4096
    .kernarg_segment_align: 8
    .kernarg_segment_size: 8
    .language:       OpenCL C
    .language_version:
      - 2
      - 0
    .max_flat_workgroup_size: 256
    .name:           _Z39warp_exchange_scatter_to_striped_kernelIiLj256ELj4ELj64EiEvPT3_
    .private_segment_fixed_size: 0
    .sgpr_count:     9
    .sgpr_spill_count: 0
    .symbol:         _Z39warp_exchange_scatter_to_striped_kernelIiLj256ELj4ELj64EiEvPT3_.kd
    .uniform_work_group_size: 1
    .uses_dynamic_stack: false
    .vgpr_count:     13
    .vgpr_spill_count: 0
    .wavefront_size: 32
    .workgroup_processor_mode: 1
amdhsa.target:   amdgcn-amd-amdhsa--gfx1030
amdhsa.version:
  - 1
  - 2
...

	.end_amdgpu_metadata
